;; amdgpu-corpus repo=ROCm/rocFFT kind=compiled arch=gfx1030 opt=O3
	.text
	.amdgcn_target "amdgcn-amd-amdhsa--gfx1030"
	.amdhsa_code_object_version 6
	.protected	fft_rtc_fwd_len1632_factors_17_2_2_3_8_wgs_102_tpt_102_halfLds_dp_ip_CI_unitstride_sbrr_R2C_dirReg ; -- Begin function fft_rtc_fwd_len1632_factors_17_2_2_3_8_wgs_102_tpt_102_halfLds_dp_ip_CI_unitstride_sbrr_R2C_dirReg
	.globl	fft_rtc_fwd_len1632_factors_17_2_2_3_8_wgs_102_tpt_102_halfLds_dp_ip_CI_unitstride_sbrr_R2C_dirReg
	.p2align	8
	.type	fft_rtc_fwd_len1632_factors_17_2_2_3_8_wgs_102_tpt_102_halfLds_dp_ip_CI_unitstride_sbrr_R2C_dirReg,@function
fft_rtc_fwd_len1632_factors_17_2_2_3_8_wgs_102_tpt_102_halfLds_dp_ip_CI_unitstride_sbrr_R2C_dirReg: ; @fft_rtc_fwd_len1632_factors_17_2_2_3_8_wgs_102_tpt_102_halfLds_dp_ip_CI_unitstride_sbrr_R2C_dirReg
; %bb.0:
	s_clause 0x2
	s_load_dwordx4 s[8:11], s[4:5], 0x0
	s_load_dwordx2 s[2:3], s[4:5], 0x50
	s_load_dwordx2 s[12:13], s[4:5], 0x18
	v_mul_u32_u24_e32 v1, 0x283, v0
	v_mov_b32_e32 v3, 0
	v_add_nc_u32_sdwa v5, s6, v1 dst_sel:DWORD dst_unused:UNUSED_PAD src0_sel:DWORD src1_sel:WORD_1
	v_mov_b32_e32 v1, 0
	v_mov_b32_e32 v6, v3
	v_mov_b32_e32 v2, 0
	s_waitcnt lgkmcnt(0)
	v_cmp_lt_u64_e64 s0, s[10:11], 2
	s_and_b32 vcc_lo, exec_lo, s0
	s_cbranch_vccnz .LBB0_8
; %bb.1:
	s_load_dwordx2 s[0:1], s[4:5], 0x10
	v_mov_b32_e32 v1, 0
	s_add_u32 s6, s12, 8
	v_mov_b32_e32 v2, 0
	s_addc_u32 s7, s13, 0
	s_mov_b64 s[16:17], 1
	s_waitcnt lgkmcnt(0)
	s_add_u32 s14, s0, 8
	s_addc_u32 s15, s1, 0
.LBB0_2:                                ; =>This Inner Loop Header: Depth=1
	s_load_dwordx2 s[18:19], s[14:15], 0x0
                                        ; implicit-def: $vgpr7_vgpr8
	s_mov_b32 s0, exec_lo
	s_waitcnt lgkmcnt(0)
	v_or_b32_e32 v4, s19, v6
	v_cmpx_ne_u64_e32 0, v[3:4]
	s_xor_b32 s1, exec_lo, s0
	s_cbranch_execz .LBB0_4
; %bb.3:                                ;   in Loop: Header=BB0_2 Depth=1
	v_cvt_f32_u32_e32 v4, s18
	v_cvt_f32_u32_e32 v7, s19
	s_sub_u32 s0, 0, s18
	s_subb_u32 s20, 0, s19
	v_fmac_f32_e32 v4, 0x4f800000, v7
	v_rcp_f32_e32 v4, v4
	v_mul_f32_e32 v4, 0x5f7ffffc, v4
	v_mul_f32_e32 v7, 0x2f800000, v4
	v_trunc_f32_e32 v7, v7
	v_fmac_f32_e32 v4, 0xcf800000, v7
	v_cvt_u32_f32_e32 v7, v7
	v_cvt_u32_f32_e32 v4, v4
	v_mul_lo_u32 v8, s0, v7
	v_mul_hi_u32 v9, s0, v4
	v_mul_lo_u32 v10, s20, v4
	v_add_nc_u32_e32 v8, v9, v8
	v_mul_lo_u32 v9, s0, v4
	v_add_nc_u32_e32 v8, v8, v10
	v_mul_hi_u32 v10, v4, v9
	v_mul_lo_u32 v11, v4, v8
	v_mul_hi_u32 v12, v4, v8
	v_mul_hi_u32 v13, v7, v9
	v_mul_lo_u32 v9, v7, v9
	v_mul_hi_u32 v14, v7, v8
	v_mul_lo_u32 v8, v7, v8
	v_add_co_u32 v10, vcc_lo, v10, v11
	v_add_co_ci_u32_e32 v11, vcc_lo, 0, v12, vcc_lo
	v_add_co_u32 v9, vcc_lo, v10, v9
	v_add_co_ci_u32_e32 v9, vcc_lo, v11, v13, vcc_lo
	v_add_co_ci_u32_e32 v10, vcc_lo, 0, v14, vcc_lo
	v_add_co_u32 v8, vcc_lo, v9, v8
	v_add_co_ci_u32_e32 v9, vcc_lo, 0, v10, vcc_lo
	v_add_co_u32 v4, vcc_lo, v4, v8
	v_add_co_ci_u32_e32 v7, vcc_lo, v7, v9, vcc_lo
	v_mul_hi_u32 v8, s0, v4
	v_mul_lo_u32 v10, s20, v4
	v_mul_lo_u32 v9, s0, v7
	v_add_nc_u32_e32 v8, v8, v9
	v_mul_lo_u32 v9, s0, v4
	v_add_nc_u32_e32 v8, v8, v10
	v_mul_hi_u32 v10, v4, v9
	v_mul_lo_u32 v11, v4, v8
	v_mul_hi_u32 v12, v4, v8
	v_mul_hi_u32 v13, v7, v9
	v_mul_lo_u32 v9, v7, v9
	v_mul_hi_u32 v14, v7, v8
	v_mul_lo_u32 v8, v7, v8
	v_add_co_u32 v10, vcc_lo, v10, v11
	v_add_co_ci_u32_e32 v11, vcc_lo, 0, v12, vcc_lo
	v_add_co_u32 v9, vcc_lo, v10, v9
	v_add_co_ci_u32_e32 v9, vcc_lo, v11, v13, vcc_lo
	v_add_co_ci_u32_e32 v10, vcc_lo, 0, v14, vcc_lo
	v_add_co_u32 v8, vcc_lo, v9, v8
	v_add_co_ci_u32_e32 v9, vcc_lo, 0, v10, vcc_lo
	v_add_co_u32 v4, vcc_lo, v4, v8
	v_add_co_ci_u32_e32 v11, vcc_lo, v7, v9, vcc_lo
	v_mul_hi_u32 v13, v5, v4
	v_mad_u64_u32 v[9:10], null, v6, v4, 0
	v_mad_u64_u32 v[7:8], null, v5, v11, 0
	;; [unrolled: 1-line block ×3, first 2 shown]
	v_add_co_u32 v4, vcc_lo, v13, v7
	v_add_co_ci_u32_e32 v7, vcc_lo, 0, v8, vcc_lo
	v_add_co_u32 v4, vcc_lo, v4, v9
	v_add_co_ci_u32_e32 v4, vcc_lo, v7, v10, vcc_lo
	v_add_co_ci_u32_e32 v7, vcc_lo, 0, v12, vcc_lo
	v_add_co_u32 v4, vcc_lo, v4, v11
	v_add_co_ci_u32_e32 v9, vcc_lo, 0, v7, vcc_lo
	v_mul_lo_u32 v10, s19, v4
	v_mad_u64_u32 v[7:8], null, s18, v4, 0
	v_mul_lo_u32 v11, s18, v9
	v_sub_co_u32 v7, vcc_lo, v5, v7
	v_add3_u32 v8, v8, v11, v10
	v_sub_nc_u32_e32 v10, v6, v8
	v_subrev_co_ci_u32_e64 v10, s0, s19, v10, vcc_lo
	v_add_co_u32 v11, s0, v4, 2
	v_add_co_ci_u32_e64 v12, s0, 0, v9, s0
	v_sub_co_u32 v13, s0, v7, s18
	v_sub_co_ci_u32_e32 v8, vcc_lo, v6, v8, vcc_lo
	v_subrev_co_ci_u32_e64 v10, s0, 0, v10, s0
	v_cmp_le_u32_e32 vcc_lo, s18, v13
	v_cmp_eq_u32_e64 s0, s19, v8
	v_cndmask_b32_e64 v13, 0, -1, vcc_lo
	v_cmp_le_u32_e32 vcc_lo, s19, v10
	v_cndmask_b32_e64 v14, 0, -1, vcc_lo
	v_cmp_le_u32_e32 vcc_lo, s18, v7
	;; [unrolled: 2-line block ×3, first 2 shown]
	v_cndmask_b32_e64 v15, 0, -1, vcc_lo
	v_cmp_eq_u32_e32 vcc_lo, s19, v10
	v_cndmask_b32_e64 v7, v15, v7, s0
	v_cndmask_b32_e32 v10, v14, v13, vcc_lo
	v_add_co_u32 v13, vcc_lo, v4, 1
	v_add_co_ci_u32_e32 v14, vcc_lo, 0, v9, vcc_lo
	v_cmp_ne_u32_e32 vcc_lo, 0, v10
	v_cndmask_b32_e32 v8, v14, v12, vcc_lo
	v_cndmask_b32_e32 v10, v13, v11, vcc_lo
	v_cmp_ne_u32_e32 vcc_lo, 0, v7
	v_cndmask_b32_e32 v8, v9, v8, vcc_lo
	v_cndmask_b32_e32 v7, v4, v10, vcc_lo
.LBB0_4:                                ;   in Loop: Header=BB0_2 Depth=1
	s_andn2_saveexec_b32 s0, s1
	s_cbranch_execz .LBB0_6
; %bb.5:                                ;   in Loop: Header=BB0_2 Depth=1
	v_cvt_f32_u32_e32 v4, s18
	s_sub_i32 s1, 0, s18
	v_rcp_iflag_f32_e32 v4, v4
	v_mul_f32_e32 v4, 0x4f7ffffe, v4
	v_cvt_u32_f32_e32 v4, v4
	v_mul_lo_u32 v7, s1, v4
	v_mul_hi_u32 v7, v4, v7
	v_add_nc_u32_e32 v4, v4, v7
	v_mul_hi_u32 v4, v5, v4
	v_mul_lo_u32 v7, v4, s18
	v_add_nc_u32_e32 v8, 1, v4
	v_sub_nc_u32_e32 v7, v5, v7
	v_subrev_nc_u32_e32 v9, s18, v7
	v_cmp_le_u32_e32 vcc_lo, s18, v7
	v_cndmask_b32_e32 v7, v7, v9, vcc_lo
	v_cndmask_b32_e32 v4, v4, v8, vcc_lo
	v_cmp_le_u32_e32 vcc_lo, s18, v7
	v_add_nc_u32_e32 v8, 1, v4
	v_cndmask_b32_e32 v7, v4, v8, vcc_lo
	v_mov_b32_e32 v8, v3
.LBB0_6:                                ;   in Loop: Header=BB0_2 Depth=1
	s_or_b32 exec_lo, exec_lo, s0
	s_load_dwordx2 s[0:1], s[6:7], 0x0
	v_mul_lo_u32 v4, v8, s18
	v_mul_lo_u32 v11, v7, s19
	v_mad_u64_u32 v[9:10], null, v7, s18, 0
	s_add_u32 s16, s16, 1
	s_addc_u32 s17, s17, 0
	s_add_u32 s6, s6, 8
	s_addc_u32 s7, s7, 0
	;; [unrolled: 2-line block ×3, first 2 shown]
	v_add3_u32 v4, v10, v11, v4
	v_sub_co_u32 v5, vcc_lo, v5, v9
	v_sub_co_ci_u32_e32 v4, vcc_lo, v6, v4, vcc_lo
	s_waitcnt lgkmcnt(0)
	v_mul_lo_u32 v6, s1, v5
	v_mul_lo_u32 v4, s0, v4
	v_mad_u64_u32 v[1:2], null, s0, v5, v[1:2]
	v_cmp_ge_u64_e64 s0, s[16:17], s[10:11]
	s_and_b32 vcc_lo, exec_lo, s0
	v_add3_u32 v2, v6, v2, v4
	s_cbranch_vccnz .LBB0_9
; %bb.7:                                ;   in Loop: Header=BB0_2 Depth=1
	v_mov_b32_e32 v5, v7
	v_mov_b32_e32 v6, v8
	s_branch .LBB0_2
.LBB0_8:
	v_mov_b32_e32 v8, v6
	v_mov_b32_e32 v7, v5
.LBB0_9:
	s_lshl_b64 s[0:1], s[10:11], 3
	v_mul_hi_u32 v3, 0x2828283, v0
	s_add_u32 s0, s12, s0
	s_addc_u32 s1, s13, s1
	s_load_dwordx2 s[0:1], s[0:1], 0x0
	s_load_dwordx2 s[4:5], s[4:5], 0x20
	v_mul_u32_u24_e32 v3, 0x66, v3
	v_sub_nc_u32_e32 v100, v0, v3
	v_lshl_add_u32 v172, v100, 4, 0
	s_waitcnt lgkmcnt(0)
	v_mul_lo_u32 v4, s0, v8
	v_mul_lo_u32 v5, s1, v7
	v_mad_u64_u32 v[1:2], null, s0, v7, v[1:2]
	v_cmp_gt_u64_e32 vcc_lo, s[4:5], v[7:8]
	v_add3_u32 v2, v5, v2, v4
	v_lshlrev_b64 v[102:103], 4, v[1:2]
	s_and_saveexec_b32 s1, vcc_lo
	s_cbranch_execz .LBB0_11
; %bb.10:
	v_mov_b32_e32 v101, 0
	v_add_co_u32 v2, s0, s2, v102
	v_add_co_ci_u32_e64 v3, s0, s3, v103, s0
	v_lshlrev_b64 v[0:1], 4, v[100:101]
	v_add_co_u32 v8, s0, v2, v0
	v_add_co_ci_u32_e64 v9, s0, v3, v1, s0
	s_clause 0x1
	global_load_dwordx4 v[0:3], v[8:9], off
	global_load_dwordx4 v[4:7], v[8:9], off offset:1632
	v_add_co_u32 v10, s0, 0x800, v8
	v_add_co_ci_u32_e64 v11, s0, 0, v9, s0
	v_add_co_u32 v12, s0, 0x1000, v8
	v_add_co_ci_u32_e64 v13, s0, 0, v9, s0
	;; [unrolled: 2-line block ×11, first 2 shown]
	s_clause 0xd
	global_load_dwordx4 v[8:11], v[10:11], off offset:1216
	global_load_dwordx4 v[12:15], v[12:13], off offset:800
	;; [unrolled: 1-line block ×14, first 2 shown]
	s_waitcnt vmcnt(15)
	ds_write_b128 v172, v[0:3]
	s_waitcnt vmcnt(14)
	ds_write_b128 v172, v[4:7] offset:1632
	s_waitcnt vmcnt(13)
	ds_write_b128 v172, v[8:11] offset:3264
	;; [unrolled: 2-line block ×15, first 2 shown]
.LBB0_11:
	s_or_b32 exec_lo, exec_lo, s1
	s_waitcnt lgkmcnt(0)
	s_barrier
	buffer_gl0_inv
	ds_read_b128 v[4:7], v172 offset:24576
	ds_read_b128 v[68:71], v172 offset:1536
	ds_read_b128 v[8:11], v172 offset:23040
	ds_read_b128 v[28:31], v172
	ds_read_b128 v[64:67], v172 offset:3072
	ds_read_b128 v[52:55], v172 offset:4608
	s_mov_b32 s4, 0x5d8e7cdc
	s_mov_b32 s5, 0xbfd71e95
	ds_read_b128 v[12:15], v172 offset:21504
	s_mov_b32 s6, 0x370991
	s_mov_b32 s16, 0x2a9d6da3
	s_mov_b32 s7, 0x3fedd6d0
	s_mov_b32 s17, 0xbfe58eea
	ds_read_b128 v[16:19], v172 offset:19968
	ds_read_b128 v[56:59], v172 offset:6144
	s_mov_b32 s10, 0x75d4884
	s_mov_b32 s12, 0x7c9e640b
	;; [unrolled: 1-line block ×4, first 2 shown]
	ds_read_b128 v[48:51], v172 offset:7680
	ds_read_b128 v[20:23], v172 offset:18432
	s_mov_b32 s14, 0x2b2883cd
	s_waitcnt lgkmcnt(9)
	v_add_f64 v[166:167], v[70:71], -v[6:7]
	v_add_f64 v[164:165], v[68:69], -v[4:5]
	v_add_f64 v[160:161], v[68:69], v[4:5]
	v_add_f64 v[170:171], v[70:71], v[6:7]
	s_waitcnt lgkmcnt(6)
	v_add_f64 v[88:89], v[66:67], -v[10:11]
	v_add_f64 v[80:81], v[64:65], -v[8:9]
	v_add_f64 v[84:85], v[64:65], v[8:9]
	v_add_f64 v[150:151], v[66:67], v[10:11]
	;; [unrolled: 5-line block ×3, first 2 shown]
	s_mov_b32 s18, 0xeb564b22
	s_waitcnt lgkmcnt(2)
	v_add_f64 v[104:105], v[58:59], -v[18:19]
	v_add_f64 v[92:93], v[56:57], -v[16:17]
	s_mov_b32 s15, 0x3fdc86fa
	s_mov_b32 s19, 0xbfefdd0d
	v_add_f64 v[106:107], v[56:57], v[16:17]
	v_add_f64 v[156:157], v[58:59], v[18:19]
	s_waitcnt lgkmcnt(0)
	v_add_f64 v[110:111], v[50:51], -v[22:23]
	v_add_f64 v[98:99], v[48:49], -v[20:21]
	ds_read_b128 v[24:27], v172 offset:16896
	ds_read_b128 v[60:63], v172 offset:9216
	v_mul_f64 v[162:163], v[166:167], s[4:5]
	v_mul_f64 v[168:169], v[164:165], s[4:5]
	s_mov_b32 s20, 0x3259b75e
	v_mul_f64 v[120:121], v[88:89], s[16:17]
	v_mul_f64 v[126:127], v[80:81], s[16:17]
	s_mov_b32 s22, 0x923c349f
	s_mov_b32 s21, 0x3fb79ee6
	v_mul_f64 v[122:123], v[96:97], s[12:13]
	v_mul_f64 v[134:135], v[86:87], s[12:13]
	s_mov_b32 s23, 0xbfeec746
	v_add_f64 v[108:109], v[48:49], v[20:21]
	v_add_f64 v[158:159], v[50:51], v[22:23]
	v_mul_f64 v[128:129], v[104:105], s[18:19]
	v_mul_f64 v[140:141], v[92:93], s[18:19]
	s_mov_b32 s24, 0xc61f0d01
	s_mov_b32 s30, 0x6c9a05f6
	;; [unrolled: 1-line block ×4, first 2 shown]
	v_mul_f64 v[136:137], v[110:111], s[22:23]
	s_waitcnt lgkmcnt(0)
	v_add_f64 v[116:117], v[62:63], -v[26:27]
	v_add_f64 v[72:73], v[60:61], -v[24:25]
	v_mul_f64 v[142:143], v[98:99], s[22:23]
	v_fma_f64 v[0:1], v[160:161], s[6:7], v[162:163]
	v_fma_f64 v[2:3], v[170:171], s[6:7], -v[168:169]
	v_add_f64 v[90:91], v[60:61], v[24:25]
	v_fma_f64 v[32:33], v[84:85], s[10:11], v[120:121]
	v_fma_f64 v[34:35], v[150:151], s[10:11], -v[126:127]
	v_add_f64 v[154:155], v[62:63], v[26:27]
	s_mov_b32 s34, 0x6ed5f1bb
	v_fma_f64 v[36:37], v[94:95], s[14:15], v[122:123]
	v_fma_f64 v[38:39], v[152:153], s[14:15], -v[134:135]
	s_mov_b32 s28, 0x4363dd80
	s_mov_b32 s35, 0xbfe348c8
	s_mov_b32 s29, 0xbfe0d888
	v_fma_f64 v[76:77], v[106:107], s[20:21], v[128:129]
	v_fma_f64 v[78:79], v[156:157], s[20:21], -v[140:141]
	s_mov_b32 s26, 0x910ea3b9
	s_mov_b32 s38, 0xacd6c6b4
	;; [unrolled: 1-line block ×4, first 2 shown]
	v_fma_f64 v[82:83], v[108:109], s[24:25], v[136:137]
	v_mul_f64 v[138:139], v[116:117], s[30:31]
	v_mul_f64 v[144:145], v[72:73], s[30:31]
	v_fma_f64 v[112:113], v[158:159], s[24:25], -v[142:143]
	v_add_f64 v[0:1], v[28:29], v[0:1]
	v_add_f64 v[2:3], v[30:31], v[2:3]
	s_mov_b32 s36, 0x7faef3
	s_mov_b32 s37, 0xbfef7484
	s_mov_b32 s33, exec_lo
	v_fma_f64 v[173:174], v[90:91], s[34:35], v[138:139]
	v_fma_f64 v[175:176], v[154:155], s[34:35], -v[144:145]
	v_add_f64 v[0:1], v[32:33], v[0:1]
	v_add_f64 v[2:3], v[34:35], v[2:3]
	ds_read_b128 v[44:47], v172 offset:10752
	ds_read_b128 v[32:35], v172 offset:15360
	s_waitcnt lgkmcnt(0)
	v_add_f64 v[132:133], v[46:47], -v[34:35]
	v_add_f64 v[0:1], v[36:37], v[0:1]
	v_add_f64 v[2:3], v[38:39], v[2:3]
	v_add_f64 v[74:75], v[44:45], -v[32:33]
	ds_read_b128 v[40:43], v172 offset:12288
	ds_read_b128 v[36:39], v172 offset:13824
	v_add_f64 v[146:147], v[46:47], v[34:35]
	s_waitcnt lgkmcnt(0)
	s_barrier
	buffer_gl0_inv
	v_mul_f64 v[124:125], v[132:133], s[28:29]
	v_add_f64 v[0:1], v[76:77], v[0:1]
	v_add_f64 v[2:3], v[78:79], v[2:3]
	;; [unrolled: 1-line block ×3, first 2 shown]
	v_add_f64 v[118:119], v[42:43], -v[38:39]
	v_add_f64 v[76:77], v[40:41], -v[36:37]
	v_mul_f64 v[130:131], v[74:75], s[28:29]
	v_add_f64 v[148:149], v[42:43], v[38:39]
	v_add_f64 v[0:1], v[82:83], v[0:1]
	;; [unrolled: 1-line block ×4, first 2 shown]
	v_mul_f64 v[112:113], v[118:119], s[38:39]
	v_mul_f64 v[114:115], v[76:77], s[38:39]
	v_fma_f64 v[177:178], v[78:79], s[26:27], v[124:125]
	v_fma_f64 v[179:180], v[146:147], s[26:27], -v[130:131]
	v_add_f64 v[0:1], v[173:174], v[0:1]
	v_add_f64 v[2:3], v[175:176], v[2:3]
	v_fma_f64 v[173:174], v[82:83], s[36:37], v[112:113]
	v_fma_f64 v[175:176], v[148:149], s[36:37], -v[114:115]
	v_add_f64 v[0:1], v[177:178], v[0:1]
	v_add_f64 v[2:3], v[179:180], v[2:3]
	;; [unrolled: 1-line block ×4, first 2 shown]
	v_cmpx_gt_u32_e32 0x60, v100
	s_cbranch_execz .LBB0_13
; %bb.12:
	v_mul_f64 v[173:174], v[170:171], s[36:37]
	v_mul_f64 v[175:176], v[166:167], s[38:39]
	;; [unrolled: 1-line block ×4, first 2 shown]
	s_mov_b32 s45, 0x3fc7851a
	s_mov_b32 s44, s38
	;; [unrolled: 1-line block ×8, first 2 shown]
	v_mul_f64 v[181:182], v[150:151], s[6:7]
	v_mul_f64 v[183:184], v[150:151], s[14:15]
	;; [unrolled: 1-line block ×4, first 2 shown]
	v_add_f64 v[70:71], v[30:31], v[70:71]
	v_add_f64 v[68:69], v[28:29], v[68:69]
	v_mul_f64 v[185:186], v[152:153], s[26:27]
	v_mul_f64 v[187:188], v[96:97], s[28:29]
	;; [unrolled: 1-line block ×4, first 2 shown]
	v_fma_f64 v[195:196], v[164:165], s[44:45], v[173:174]
	v_fma_f64 v[197:198], v[160:161], s[36:37], v[175:176]
	;; [unrolled: 1-line block ×3, first 2 shown]
	v_fma_f64 v[175:176], v[160:161], s[36:37], -v[175:176]
	v_fma_f64 v[201:202], v[164:165], s[0:1], v[177:178]
	v_fma_f64 v[203:204], v[160:161], s[26:27], v[179:180]
	;; [unrolled: 1-line block ×3, first 2 shown]
	v_fma_f64 v[179:180], v[160:161], s[26:27], -v[179:180]
	s_mov_b32 s49, 0x3fe58eea
	s_mov_b32 s48, s16
	;; [unrolled: 1-line block ×4, first 2 shown]
	v_fma_f64 v[209:210], v[80:81], s[4:5], v[181:182]
	v_fma_f64 v[181:182], v[80:81], s[40:41], v[181:182]
	;; [unrolled: 1-line block ×4, first 2 shown]
	v_fma_f64 v[191:192], v[84:85], s[6:7], -v[191:192]
	v_fma_f64 v[215:216], v[84:85], s[14:15], v[199:200]
	s_mov_b32 s51, 0x3fe9895b
	s_mov_b32 s50, s30
	v_mul_f64 v[205:206], v[156:157], s[10:11]
	v_mul_f64 v[207:208], v[156:157], s[34:35]
	v_add_f64 v[195:196], v[30:31], v[195:196]
	v_add_f64 v[197:198], v[28:29], v[197:198]
	;; [unrolled: 1-line block ×6, first 2 shown]
	v_mul_f64 v[221:222], v[104:105], s[48:49]
	v_mul_f64 v[223:224], v[104:105], s[50:51]
	v_add_f64 v[66:67], v[70:71], v[66:67]
	v_add_f64 v[64:65], v[68:69], v[64:65]
	v_fma_f64 v[68:69], v[80:81], s[42:43], v[183:184]
	v_add_f64 v[70:71], v[30:31], v[177:178]
	v_fma_f64 v[177:178], v[86:87], s[0:1], v[185:186]
	v_fma_f64 v[183:184], v[94:95], s[26:27], v[187:188]
	;; [unrolled: 1-line block ×3, first 2 shown]
	v_fma_f64 v[199:200], v[84:85], s[14:15], -v[199:200]
	v_add_f64 v[179:180], v[28:29], v[179:180]
	v_fma_f64 v[187:188], v[94:95], s[26:27], -v[187:188]
	v_fma_f64 v[225:226], v[86:87], s[46:47], v[189:190]
	v_mul_f64 v[217:218], v[158:159], s[34:35]
	v_mul_f64 v[219:220], v[110:111], s[30:31]
	v_fma_f64 v[189:190], v[86:87], s[18:19], v[189:190]
	v_add_f64 v[195:196], v[209:210], v[195:196]
	v_add_f64 v[197:198], v[213:214], v[197:198]
	;; [unrolled: 1-line block ×4, first 2 shown]
	v_fma_f64 v[181:182], v[94:95], s[20:21], v[193:194]
	v_add_f64 v[191:192], v[211:212], v[201:202]
	v_add_f64 v[201:202], v[215:216], v[203:204]
	v_mul_f64 v[203:204], v[158:159], s[6:7]
	v_mul_f64 v[209:210], v[110:111], s[4:5]
	v_fma_f64 v[193:194], v[94:95], s[20:21], -v[193:194]
	v_fma_f64 v[215:216], v[92:93], s[16:17], v[205:206]
	v_add_f64 v[68:69], v[68:69], v[70:71]
	v_fma_f64 v[70:71], v[92:93], s[48:49], v[205:206]
	v_fma_f64 v[205:206], v[92:93], s[30:31], v[207:208]
	;; [unrolled: 1-line block ×3, first 2 shown]
	v_fma_f64 v[221:222], v[106:107], s[10:11], -v[221:222]
	v_add_f64 v[179:180], v[199:200], v[179:180]
	v_add_f64 v[54:55], v[66:67], v[54:55]
	;; [unrolled: 1-line block ×3, first 2 shown]
	v_mul_f64 v[211:212], v[154:155], s[14:15]
	v_mul_f64 v[213:214], v[154:155], s[36:37]
	v_fma_f64 v[199:200], v[98:99], s[50:51], v[217:218]
	v_add_f64 v[64:65], v[177:178], v[195:196]
	v_add_f64 v[66:67], v[183:184], v[197:198]
	;; [unrolled: 1-line block ×4, first 2 shown]
	v_fma_f64 v[177:178], v[106:107], s[34:35], v[223:224]
	v_add_f64 v[183:184], v[225:226], v[191:192]
	v_add_f64 v[181:182], v[181:182], v[201:202]
	v_mul_f64 v[185:186], v[116:117], s[38:39]
	v_mul_f64 v[195:196], v[116:117], s[42:43]
	v_fma_f64 v[197:198], v[92:93], s[50:51], v[207:208]
	v_fma_f64 v[201:202], v[108:109], s[34:35], v[219:220]
	v_add_f64 v[68:69], v[189:190], v[68:69]
	v_fma_f64 v[189:190], v[98:99], s[30:31], v[217:218]
	v_fma_f64 v[207:208], v[108:109], s[34:35], -v[219:220]
	v_fma_f64 v[217:218], v[98:99], s[40:41], v[203:204]
	v_fma_f64 v[219:220], v[106:107], s[34:35], -v[223:224]
	v_add_f64 v[179:180], v[193:194], v[179:180]
	v_add_f64 v[54:55], v[54:55], v[58:59]
	;; [unrolled: 1-line block ×3, first 2 shown]
	v_mul_f64 v[187:188], v[146:147], s[24:25]
	v_mul_f64 v[191:192], v[132:133], s[22:23]
	v_fma_f64 v[193:194], v[108:109], s[6:7], -v[209:210]
	v_add_f64 v[56:57], v[215:216], v[64:65]
	v_add_f64 v[58:59], v[227:228], v[66:67]
	;; [unrolled: 1-line block ×4, first 2 shown]
	v_fma_f64 v[70:71], v[108:109], s[6:7], v[209:210]
	v_add_f64 v[173:174], v[205:206], v[183:184]
	v_add_f64 v[175:176], v[177:178], v[181:182]
	v_mul_f64 v[177:178], v[146:147], s[10:11]
	v_mul_f64 v[181:182], v[132:133], s[48:49]
	v_fma_f64 v[183:184], v[98:99], s[4:5], v[203:204]
	v_fma_f64 v[203:204], v[72:73], s[12:13], v[211:212]
	v_add_f64 v[68:69], v[197:198], v[68:69]
	v_fma_f64 v[197:198], v[72:73], s[42:43], v[211:212]
	v_fma_f64 v[205:206], v[72:73], s[44:45], v[213:214]
	;; [unrolled: 1-line block ×3, first 2 shown]
	v_fma_f64 v[195:196], v[90:91], s[14:15], -v[195:196]
	v_add_f64 v[179:180], v[219:220], v[179:180]
	v_add_f64 v[50:51], v[54:55], v[50:51]
	v_add_f64 v[48:49], v[52:53], v[48:49]
	s_mov_b32 s53, 0x3feec746
	s_mov_b32 s52, s22
	v_mul_f64 v[215:216], v[116:117], s[16:17]
	v_add_f64 v[52:53], v[199:200], v[56:57]
	v_add_f64 v[54:55], v[201:202], v[58:59]
	;; [unrolled: 1-line block ×4, first 2 shown]
	v_fma_f64 v[64:65], v[90:91], s[36:37], v[185:186]
	v_add_f64 v[66:67], v[217:218], v[173:174]
	v_add_f64 v[70:71], v[70:71], v[175:176]
	v_mul_f64 v[175:176], v[148:149], s[24:25]
	v_mul_f64 v[189:190], v[118:119], s[22:23]
	v_fma_f64 v[201:202], v[72:73], s[38:39], v[213:214]
	v_fma_f64 v[185:186], v[90:91], s[36:37], -v[185:186]
	v_fma_f64 v[207:208], v[74:75], s[52:53], v[187:188]
	v_add_f64 v[68:69], v[183:184], v[68:69]
	v_fma_f64 v[183:184], v[78:79], s[24:25], v[191:192]
	v_fma_f64 v[187:188], v[74:75], s[22:23], v[187:188]
	v_fma_f64 v[191:192], v[78:79], s[24:25], -v[191:192]
	v_fma_f64 v[211:212], v[74:75], s[16:17], v[177:178]
	v_add_f64 v[179:180], v[193:194], v[179:180]
	v_add_f64 v[50:51], v[50:51], v[62:63]
	;; [unrolled: 1-line block ×3, first 2 shown]
	v_fma_f64 v[60:61], v[78:79], s[10:11], v[181:182]
	v_mul_f64 v[173:174], v[148:149], s[20:21]
	v_add_f64 v[52:53], v[203:204], v[52:53]
	v_add_f64 v[54:55], v[209:210], v[54:55]
	;; [unrolled: 1-line block ×4, first 2 shown]
	v_mul_f64 v[199:200], v[118:119], s[46:47]
	v_add_f64 v[62:63], v[205:206], v[66:67]
	v_add_f64 v[64:65], v[64:65], v[70:71]
	v_mul_f64 v[66:67], v[170:171], s[34:35]
	v_mul_f64 v[195:196], v[166:167], s[30:31]
	v_fma_f64 v[177:178], v[74:75], s[48:49], v[177:178]
	v_fma_f64 v[181:182], v[78:79], s[10:11], -v[181:182]
	v_mul_f64 v[193:194], v[170:171], s[20:21]
	v_add_f64 v[68:69], v[201:202], v[68:69]
	v_fma_f64 v[201:202], v[76:77], s[52:53], v[175:176]
	v_fma_f64 v[175:176], v[76:77], s[22:23], v[175:176]
	v_mul_f64 v[70:71], v[170:171], s[24:25]
	v_mul_f64 v[209:210], v[158:159], s[20:21]
	v_add_f64 v[179:180], v[185:186], v[179:180]
	v_add_f64 v[46:47], v[50:51], v[46:47]
	;; [unrolled: 1-line block ×3, first 2 shown]
	v_mul_f64 v[185:186], v[170:171], s[10:11]
	v_fma_f64 v[197:198], v[76:77], s[18:19], v[173:174]
	v_add_f64 v[48:49], v[207:208], v[52:53]
	v_add_f64 v[50:51], v[183:184], v[54:55]
	;; [unrolled: 1-line block ×4, first 2 shown]
	v_fma_f64 v[56:57], v[82:83], s[24:25], v[189:190]
	v_add_f64 v[58:59], v[211:212], v[62:63]
	v_add_f64 v[60:61], v[60:61], v[64:65]
	v_fma_f64 v[62:63], v[164:165], s[50:51], v[66:67]
	v_mul_f64 v[64:65], v[150:151], s[24:25]
	v_fma_f64 v[173:174], v[76:77], s[46:47], v[173:174]
	v_fma_f64 v[203:204], v[82:83], s[20:21], v[199:200]
	v_fma_f64 v[199:200], v[82:83], s[20:21], -v[199:200]
	v_fma_f64 v[187:188], v[160:161], s[34:35], v[195:196]
	v_mul_f64 v[191:192], v[88:89], s[52:53]
	v_add_f64 v[68:69], v[177:178], v[68:69]
	v_fma_f64 v[66:67], v[164:165], s[30:31], v[66:67]
	v_fma_f64 v[177:178], v[160:161], s[34:35], -v[195:196]
	v_fma_f64 v[189:190], v[82:83], s[24:25], -v[189:190]
	v_add_f64 v[179:180], v[181:182], v[179:180]
	v_add_f64 v[181:182], v[46:47], v[42:43]
	;; [unrolled: 1-line block ×3, first 2 shown]
	v_mul_f64 v[183:184], v[170:171], s[14:15]
	v_add_f64 v[46:47], v[197:198], v[48:49]
	v_mul_f64 v[170:171], v[170:171], s[6:7]
	v_mul_f64 v[213:214], v[154:155], s[10:11]
	;; [unrolled: 1-line block ×4, first 2 shown]
	v_add_f64 v[42:43], v[201:202], v[58:59]
	v_add_f64 v[40:41], v[56:57], v[60:61]
	;; [unrolled: 1-line block ×3, first 2 shown]
	v_fma_f64 v[58:59], v[80:81], s[22:23], v[64:65]
	v_mul_f64 v[60:61], v[152:153], s[6:7]
	v_add_f64 v[44:45], v[203:204], v[50:51]
	v_add_f64 v[50:51], v[173:174], v[52:53]
	;; [unrolled: 1-line block ×4, first 2 shown]
	v_fma_f64 v[197:198], v[84:85], s[24:25], v[191:192]
	v_mul_f64 v[199:200], v[96:97], s[4:5]
	v_add_f64 v[54:55], v[175:176], v[68:69]
	v_add_f64 v[66:67], v[30:31], v[66:67]
	v_fma_f64 v[64:65], v[80:81], s[52:53], v[64:65]
	v_add_f64 v[68:69], v[28:29], v[177:178]
	v_fma_f64 v[175:176], v[84:85], s[24:25], -v[191:192]
	v_add_f64 v[52:53], v[189:190], v[179:180]
	v_fma_f64 v[179:180], v[164:165], s[46:47], v[193:194]
	v_fma_f64 v[189:190], v[164:165], s[18:19], v[193:194]
	v_mul_f64 v[193:194], v[156:157], s[26:27]
	v_mul_f64 v[173:174], v[166:167], s[22:23]
	;; [unrolled: 1-line block ×6, first 2 shown]
	v_add_f64 v[56:57], v[58:59], v[56:57]
	v_fma_f64 v[58:59], v[86:87], s[40:41], v[60:61]
	v_fma_f64 v[60:61], v[86:87], s[4:5], v[60:61]
	;; [unrolled: 1-line block ×4, first 2 shown]
	v_add_f64 v[38:39], v[181:182], v[38:39]
	v_add_f64 v[187:188], v[197:198], v[187:188]
	v_fma_f64 v[197:198], v[94:95], s[6:7], v[199:200]
	v_add_f64 v[36:37], v[195:196], v[36:37]
	v_fma_f64 v[181:182], v[164:165], s[42:43], v[183:184]
	;; [unrolled: 2-line block ×3, first 2 shown]
	v_add_f64 v[66:67], v[175:176], v[68:69]
	v_fma_f64 v[68:69], v[94:95], s[6:7], -v[199:200]
	v_fma_f64 v[195:196], v[164:165], s[48:49], v[185:186]
	v_mul_f64 v[203:204], v[160:161], s[6:7]
	v_fma_f64 v[164:165], v[164:165], s[16:17], v[185:186]
	v_add_f64 v[168:169], v[168:169], v[170:171]
	v_mul_f64 v[170:171], v[150:151], s[26:27]
	v_fma_f64 v[175:176], v[160:161], s[24:25], v[173:174]
	v_fma_f64 v[173:174], v[160:161], s[24:25], -v[173:174]
	v_mul_f64 v[185:186], v[88:89], s[0:1]
	v_fma_f64 v[199:200], v[160:161], s[20:21], v[62:63]
	v_add_f64 v[56:57], v[58:59], v[56:57]
	v_fma_f64 v[58:59], v[92:93], s[0:1], v[193:194]
	v_fma_f64 v[62:63], v[160:161], s[20:21], -v[62:63]
	v_fma_f64 v[205:206], v[160:161], s[14:15], v[191:192]
	v_fma_f64 v[191:192], v[160:161], s[14:15], -v[191:192]
	;; [unrolled: 2-line block ×3, first 2 shown]
	v_add_f64 v[166:167], v[197:198], v[187:188]
	v_fma_f64 v[187:188], v[106:107], s[26:27], v[201:202]
	v_mul_f64 v[197:198], v[110:111], s[46:47]
	v_add_f64 v[60:61], v[60:61], v[64:65]
	v_fma_f64 v[64:65], v[92:93], s[28:29], v[193:194]
	v_add_f64 v[66:67], v[68:69], v[66:67]
	v_fma_f64 v[68:69], v[106:107], s[26:27], -v[201:202]
	v_add_f64 v[162:163], v[203:204], -v[162:163]
	v_add_f64 v[177:178], v[30:31], v[177:178]
	v_mul_f64 v[201:202], v[152:153], s[10:11]
	v_fma_f64 v[193:194], v[80:81], s[28:29], v[170:171]
	v_add_f64 v[175:176], v[28:29], v[175:176]
	v_add_f64 v[70:71], v[30:31], v[70:71]
	v_fma_f64 v[203:204], v[84:85], s[26:27], v[185:186]
	v_add_f64 v[173:174], v[28:29], v[173:174]
	v_add_f64 v[199:200], v[28:29], v[199:200]
	;; [unrolled: 1-line block ×3, first 2 shown]
	v_fma_f64 v[58:59], v[98:99], s[18:19], v[209:210]
	v_add_f64 v[62:63], v[28:29], v[62:63]
	v_add_f64 v[205:206], v[28:29], v[205:206]
	;; [unrolled: 1-line block ×4, first 2 shown]
	v_mul_f64 v[219:220], v[150:151], s[36:37]
	v_add_f64 v[166:167], v[187:188], v[166:167]
	v_fma_f64 v[187:188], v[108:109], s[20:21], v[197:198]
	v_mul_f64 v[221:222], v[132:133], s[38:39]
	v_add_f64 v[60:61], v[64:65], v[60:61]
	v_fma_f64 v[64:65], v[98:99], s[46:47], v[209:210]
	v_add_f64 v[66:67], v[68:69], v[66:67]
	v_fma_f64 v[68:69], v[108:109], s[20:21], -v[197:198]
	v_mul_f64 v[197:198], v[156:157], s[14:15]
	v_mul_f64 v[209:210], v[104:105], s[12:13]
	v_add_f64 v[177:178], v[193:194], v[177:178]
	v_fma_f64 v[193:194], v[86:87], s[16:17], v[201:202]
	v_fma_f64 v[170:171], v[80:81], s[0:1], v[170:171]
	v_add_f64 v[175:176], v[203:204], v[175:176]
	v_fma_f64 v[203:204], v[94:95], s[10:11], v[211:212]
	v_add_f64 v[160:161], v[28:29], v[160:161]
	v_fma_f64 v[185:186], v[84:85], s[26:27], -v[185:186]
	v_add_f64 v[56:57], v[58:59], v[56:57]
	v_fma_f64 v[58:59], v[72:73], s[48:49], v[213:214]
	v_add_f64 v[28:29], v[28:29], v[162:163]
	v_mul_f64 v[162:163], v[88:89], s[38:39]
	v_add_f64 v[179:180], v[30:31], v[179:180]
	v_add_f64 v[189:190], v[30:31], v[189:190]
	;; [unrolled: 1-line block ×4, first 2 shown]
	v_fma_f64 v[187:188], v[90:91], s[10:11], v[215:216]
	v_add_f64 v[183:184], v[30:31], v[183:184]
	v_add_f64 v[60:61], v[64:65], v[60:61]
	v_fma_f64 v[64:65], v[72:73], s[16:17], v[213:214]
	v_add_f64 v[66:67], v[68:69], v[66:67]
	v_fma_f64 v[68:69], v[90:91], s[10:11], -v[215:216]
	v_add_f64 v[195:196], v[30:31], v[195:196]
	v_add_f64 v[164:165], v[30:31], v[164:165]
	;; [unrolled: 1-line block ×3, first 2 shown]
	v_fma_f64 v[193:194], v[92:93], s[42:43], v[197:198]
	v_mul_f64 v[213:214], v[158:159], s[36:37]
	v_add_f64 v[175:176], v[203:204], v[175:176]
	v_fma_f64 v[203:204], v[106:107], s[14:15], v[209:210]
	v_mul_f64 v[215:216], v[110:111], s[38:39]
	v_add_f64 v[30:31], v[30:31], v[168:169]
	v_add_f64 v[56:57], v[58:59], v[56:57]
	v_fma_f64 v[58:59], v[74:75], s[44:45], v[217:218]
	v_add_f64 v[34:35], v[38:39], v[34:35]
	v_mul_f64 v[168:169], v[152:153], s[24:25]
	v_add_f64 v[70:71], v[170:171], v[70:71]
	v_fma_f64 v[170:171], v[86:87], s[48:49], v[201:202]
	v_add_f64 v[173:174], v[185:186], v[173:174]
	v_add_f64 v[38:39], v[187:188], v[166:167]
	v_fma_f64 v[166:167], v[80:81], s[38:39], v[219:220]
	v_fma_f64 v[187:188], v[78:79], s[36:37], v[221:222]
	v_add_f64 v[60:61], v[64:65], v[60:61]
	v_fma_f64 v[64:65], v[74:75], s[38:39], v[217:218]
	v_add_f64 v[66:67], v[68:69], v[66:67]
	v_fma_f64 v[68:69], v[78:79], s[36:37], -v[221:222]
	v_fma_f64 v[185:186], v[94:95], s[10:11], -v[211:212]
	v_add_f64 v[32:33], v[36:37], v[32:33]
	v_fma_f64 v[36:37], v[80:81], s[44:45], v[219:220]
	v_mul_f64 v[201:202], v[96:97], s[52:53]
	v_add_f64 v[177:178], v[193:194], v[177:178]
	v_fma_f64 v[193:194], v[98:99], s[44:45], v[213:214]
	v_mul_f64 v[217:218], v[154:155], s[20:21]
	v_add_f64 v[175:176], v[203:204], v[175:176]
	v_fma_f64 v[203:204], v[108:109], s[36:37], v[215:216]
	v_add_f64 v[56:57], v[58:59], v[56:57]
	v_fma_f64 v[58:59], v[84:85], s[36:37], v[162:163]
	v_fma_f64 v[162:163], v[84:85], s[36:37], -v[162:163]
	v_mul_f64 v[211:212], v[116:117], s[46:47]
	v_mul_f64 v[219:220], v[156:157], s[6:7]
	v_add_f64 v[70:71], v[170:171], v[70:71]
	v_fma_f64 v[170:171], v[92:93], s[12:13], v[197:198]
	v_add_f64 v[166:167], v[166:167], v[189:190]
	v_fma_f64 v[189:190], v[86:87], s[52:53], v[168:169]
	v_add_f64 v[38:39], v[187:188], v[38:39]
	v_add_f64 v[60:61], v[64:65], v[60:61]
	v_fma_f64 v[168:169], v[86:87], s[22:23], v[168:169]
	v_add_f64 v[64:65], v[68:69], v[66:67]
	v_mul_f64 v[66:67], v[150:151], s[34:35]
	v_add_f64 v[173:174], v[185:186], v[173:174]
	v_fma_f64 v[185:186], v[106:107], s[14:15], -v[209:210]
	v_add_f64 v[36:37], v[36:37], v[179:180]
	v_fma_f64 v[179:180], v[94:95], s[24:25], v[201:202]
	v_mul_f64 v[187:188], v[104:105], s[40:41]
	v_add_f64 v[68:69], v[193:194], v[177:178]
	v_fma_f64 v[177:178], v[72:73], s[18:19], v[217:218]
	v_add_f64 v[175:176], v[203:204], v[175:176]
	v_mul_f64 v[197:198], v[158:159], s[14:15]
	v_add_f64 v[58:59], v[58:59], v[199:200]
	v_add_f64 v[62:63], v[162:163], v[62:63]
	v_fma_f64 v[162:163], v[94:95], s[24:25], -v[201:202]
	v_mul_f64 v[201:202], v[88:89], s[30:31]
	v_fma_f64 v[193:194], v[90:91], s[20:21], v[211:212]
	v_add_f64 v[24:25], v[32:33], v[24:25]
	v_mul_f64 v[199:200], v[152:153], s[36:37]
	v_add_f64 v[166:167], v[189:190], v[166:167]
	v_fma_f64 v[189:190], v[92:93], s[40:41], v[219:220]
	v_add_f64 v[70:71], v[170:171], v[70:71]
	v_fma_f64 v[170:171], v[98:99], s[38:39], v[213:214]
	v_mul_f64 v[209:210], v[110:111], s[12:13]
	v_fma_f64 v[32:33], v[80:81], s[50:51], v[66:67]
	v_fma_f64 v[66:67], v[80:81], s[30:31], v[66:67]
	v_add_f64 v[173:174], v[185:186], v[173:174]
	v_fma_f64 v[185:186], v[108:109], s[36:37], -v[215:216]
	v_add_f64 v[36:37], v[168:169], v[36:37]
	v_fma_f64 v[168:169], v[92:93], s[4:5], v[219:220]
	v_add_f64 v[26:27], v[34:35], v[26:27]
	v_mul_f64 v[34:35], v[146:147], s[6:7]
	v_add_f64 v[68:69], v[177:178], v[68:69]
	v_mul_f64 v[177:178], v[132:133], s[4:5]
	v_add_f64 v[58:59], v[179:180], v[58:59]
	v_fma_f64 v[179:180], v[106:107], s[6:7], v[187:188]
	v_add_f64 v[62:63], v[162:163], v[62:63]
	v_fma_f64 v[162:163], v[106:107], s[6:7], -v[187:188]
	v_fma_f64 v[215:216], v[84:85], s[34:35], v[201:202]
	v_add_f64 v[175:176], v[193:194], v[175:176]
	v_mul_f64 v[193:194], v[154:155], s[26:27]
	v_fma_f64 v[201:202], v[84:85], s[34:35], -v[201:202]
	v_add_f64 v[166:167], v[189:190], v[166:167]
	v_fma_f64 v[189:190], v[98:99], s[12:13], v[197:198]
	v_add_f64 v[70:71], v[170:171], v[70:71]
	v_fma_f64 v[170:171], v[72:73], s[46:47], v[217:218]
	;; [unrolled: 2-line block ×4, first 2 shown]
	v_mul_f64 v[199:200], v[96:97], s[44:45]
	v_add_f64 v[173:174], v[185:186], v[173:174]
	v_fma_f64 v[185:186], v[90:91], s[20:21], -v[211:212]
	v_add_f64 v[36:37], v[168:169], v[36:37]
	v_fma_f64 v[168:169], v[98:99], s[42:43], v[197:198]
	v_mul_f64 v[197:198], v[116:117], s[28:29]
	v_fma_f64 v[203:204], v[74:75], s[40:41], v[34:35]
	v_add_f64 v[58:59], v[179:180], v[58:59]
	v_fma_f64 v[179:180], v[108:109], s[14:15], v[209:210]
	v_add_f64 v[62:63], v[162:163], v[62:63]
	v_fma_f64 v[162:163], v[108:109], s[14:15], -v[209:210]
	v_add_f64 v[205:206], v[215:216], v[205:206]
	v_mul_f64 v[215:216], v[150:151], s[20:21]
	v_mul_f64 v[187:188], v[156:157], s[24:25]
	v_fma_f64 v[213:214], v[78:79], s[6:7], v[177:178]
	v_add_f64 v[166:167], v[189:190], v[166:167]
	v_fma_f64 v[189:190], v[72:73], s[28:29], v[193:194]
	v_mul_f64 v[217:218], v[104:105], s[52:53]
	v_add_f64 v[70:71], v[170:171], v[70:71]
	v_fma_f64 v[34:35], v[74:75], s[4:5], v[34:35]
	v_mul_f64 v[150:151], v[150:151], s[10:11]
	v_add_f64 v[66:67], v[183:184], v[66:67]
	v_fma_f64 v[183:184], v[94:95], s[36:37], v[199:200]
	v_add_f64 v[22:23], v[26:27], v[22:23]
	v_add_f64 v[170:171], v[185:186], v[173:174]
	v_fma_f64 v[173:174], v[78:79], s[6:7], -v[177:178]
	v_add_f64 v[36:37], v[168:169], v[36:37]
	v_fma_f64 v[168:169], v[72:73], s[0:1], v[193:194]
	v_add_f64 v[177:178], v[201:202], v[191:192]
	v_mul_f64 v[193:194], v[152:153], s[34:35]
	v_add_f64 v[58:59], v[179:180], v[58:59]
	v_fma_f64 v[179:180], v[94:95], s[36:37], -v[199:200]
	v_add_f64 v[62:63], v[162:163], v[62:63]
	v_fma_f64 v[162:163], v[90:91], s[26:27], -v[197:198]
	v_fma_f64 v[191:192], v[80:81], s[46:47], v[215:216]
	v_mul_f64 v[199:200], v[84:85], s[10:11]
	v_add_f64 v[20:21], v[24:25], v[20:21]
	v_mul_f64 v[26:27], v[88:89], s[18:19]
	v_add_f64 v[32:33], v[181:182], v[32:33]
	v_fma_f64 v[181:182], v[92:93], s[22:23], v[187:188]
	v_fma_f64 v[187:188], v[92:93], s[52:53], v[187:188]
	v_add_f64 v[24:25], v[34:35], v[70:71]
	v_fma_f64 v[70:71], v[106:107], s[24:25], -v[217:218]
	v_fma_f64 v[80:81], v[80:81], s[18:19], v[215:216]
	v_mul_f64 v[152:153], v[152:153], s[14:15]
	v_add_f64 v[126:127], v[126:127], v[150:151]
	v_mul_f64 v[150:151], v[94:95], s[14:15]
	v_add_f64 v[88:89], v[173:174], v[170:171]
	;; [unrolled: 2-line block ×3, first 2 shown]
	v_add_f64 v[18:19], v[22:23], v[18:19]
	v_fma_f64 v[168:169], v[86:87], s[50:51], v[193:194]
	v_add_f64 v[183:184], v[183:184], v[205:206]
	v_add_f64 v[34:35], v[179:180], v[177:178]
	v_mul_f64 v[177:178], v[106:107], s[20:21]
	v_add_f64 v[62:63], v[162:163], v[62:63]
	v_add_f64 v[162:163], v[191:192], v[195:196]
	v_add_f64 v[120:121], v[199:200], -v[120:121]
	v_add_f64 v[22:23], v[20:21], v[16:17]
	v_fma_f64 v[16:17], v[84:85], s[20:21], -v[26:27]
	v_mul_f64 v[20:21], v[96:97], s[30:31]
	v_fma_f64 v[26:27], v[84:85], s[20:21], v[26:27]
	v_add_f64 v[66:67], v[187:188], v[66:67]
	v_fma_f64 v[187:188], v[106:107], s[24:25], v[217:218]
	v_mul_f64 v[96:97], v[156:157], s[36:37]
	v_fma_f64 v[86:87], v[86:87], s[30:31], v[193:194]
	v_add_f64 v[80:81], v[80:81], v[164:165]
	v_add_f64 v[134:135], v[134:135], v[152:153]
	;; [unrolled: 1-line block ×3, first 2 shown]
	v_add_f64 v[122:123], v[150:151], -v[122:123]
	v_mul_f64 v[104:105], v[104:105], s[38:39]
	v_mul_f64 v[209:210], v[158:159], s[10:11]
	;; [unrolled: 1-line block ×3, first 2 shown]
	v_fma_f64 v[185:186], v[90:91], s[26:27], v[197:198]
	v_add_f64 v[32:33], v[181:182], v[32:33]
	v_add_f64 v[34:35], v[70:71], v[34:35]
	v_mul_f64 v[70:71], v[156:157], s[20:21]
	v_mul_f64 v[156:157], v[158:159], s[24:25]
	v_add_f64 v[162:163], v[168:169], v[162:163]
	v_fma_f64 v[168:169], v[76:77], s[12:13], v[170:171]
	v_fma_f64 v[170:171], v[76:77], s[42:43], v[170:171]
	v_add_f64 v[28:29], v[120:121], v[28:29]
	v_add_f64 v[160:161], v[16:17], v[160:161]
	v_fma_f64 v[179:180], v[94:95], s[34:35], -v[20:21]
	v_fma_f64 v[94:95], v[94:95], s[34:35], v[20:21]
	v_add_f64 v[26:27], v[26:27], v[207:208]
	v_add_f64 v[173:174], v[187:188], v[183:184]
	v_mul_f64 v[158:159], v[158:159], s[26:27]
	v_fma_f64 v[183:184], v[92:93], s[44:45], v[96:97]
	v_fma_f64 v[92:93], v[92:93], s[38:39], v[96:97]
	v_add_f64 v[80:81], v[86:87], v[80:81]
	v_add_f64 v[30:31], v[134:135], v[30:31]
	v_mul_f64 v[164:165], v[90:91], s[34:35]
	v_fma_f64 v[181:182], v[98:99], s[16:17], v[209:210]
	v_fma_f64 v[197:198], v[98:99], s[48:49], v[209:210]
	v_mul_f64 v[152:153], v[154:155], s[34:35]
	v_add_f64 v[84:85], v[84:85], -v[136:137]
	v_mul_f64 v[211:212], v[146:147], s[34:35]
	v_add_f64 v[70:71], v[140:141], v[70:71]
	v_add_f64 v[142:143], v[142:143], v[156:157]
	v_mul_f64 v[150:151], v[78:79], s[26:27]
	v_mul_f64 v[96:97], v[146:147], s[26:27]
	v_add_f64 v[20:21], v[170:171], v[60:61]
	v_add_f64 v[60:61], v[177:178], -v[128:129]
	v_add_f64 v[28:29], v[122:123], v[28:29]
	v_mul_f64 v[122:123], v[110:111], s[48:49]
	v_add_f64 v[134:135], v[179:180], v[160:161]
	v_fma_f64 v[160:161], v[106:107], s[36:37], -v[104:105]
	v_mul_f64 v[110:111], v[110:111], s[0:1]
	v_fma_f64 v[104:105], v[106:107], s[36:37], v[104:105]
	v_add_f64 v[26:27], v[94:95], v[26:27]
	v_fma_f64 v[94:95], v[98:99], s[28:29], v[158:159]
	v_fma_f64 v[98:99], v[98:99], s[0:1], v[158:159]
	v_add_f64 v[80:81], v[92:93], v[80:81]
	v_mul_f64 v[92:93], v[154:155], s[6:7]
	v_mul_f64 v[154:155], v[154:155], s[24:25]
	v_add_f64 v[162:163], v[183:184], v[162:163]
	v_add_f64 v[144:145], v[144:145], v[152:153]
	v_add_f64 v[138:139], v[164:165], -v[138:139]
	v_mul_f64 v[106:107], v[132:133], s[50:51]
	v_add_f64 v[30:31], v[70:71], v[30:31]
	v_mul_f64 v[152:153], v[132:133], s[18:19]
	v_mul_f64 v[132:133], v[132:133], s[42:43]
	v_add_f64 v[66:67], v[197:198], v[66:67]
	v_add_f64 v[32:33], v[181:182], v[32:33]
	;; [unrolled: 1-line block ×4, first 2 shown]
	v_mul_f64 v[60:61], v[116:117], s[4:5]
	v_mul_f64 v[116:117], v[116:117], s[52:53]
	v_add_f64 v[134:135], v[160:161], v[134:135]
	v_fma_f64 v[160:161], v[108:109], s[10:11], -v[122:123]
	v_fma_f64 v[177:178], v[108:109], s[26:27], -v[110:111]
	v_fma_f64 v[122:123], v[108:109], s[10:11], v[122:123]
	v_fma_f64 v[108:109], v[108:109], s[26:27], v[110:111]
	v_add_f64 v[26:27], v[104:105], v[26:27]
	v_add_f64 v[80:81], v[98:99], v[80:81]
	v_mul_f64 v[98:99], v[146:147], s[20:21]
	v_mul_f64 v[146:147], v[146:147], s[14:15]
	v_fma_f64 v[164:165], v[72:73], s[52:53], v[154:155]
	v_fma_f64 v[104:105], v[72:73], s[4:5], v[92:93]
	;; [unrolled: 1-line block ×4, first 2 shown]
	v_add_f64 v[30:31], v[142:143], v[30:31]
	v_add_f64 v[94:95], v[94:95], v[162:163]
	;; [unrolled: 1-line block ×3, first 2 shown]
	v_mul_f64 v[86:87], v[82:83], s[36:37]
	v_mul_f64 v[140:141], v[148:149], s[36:37]
	v_add_f64 v[96:97], v[130:131], v[96:97]
	v_add_f64 v[28:29], v[84:85], v[28:29]
	v_add_f64 v[124:125], v[150:151], -v[124:125]
	v_mul_f64 v[126:127], v[118:119], s[42:43]
	v_mul_f64 v[120:121], v[148:149], s[34:35]
	v_add_f64 v[34:35], v[160:161], v[34:35]
	v_add_f64 v[134:135], v[177:178], v[134:135]
	v_fma_f64 v[160:161], v[90:91], s[24:25], -v[116:117]
	v_fma_f64 v[177:178], v[90:91], s[6:7], -v[60:61]
	v_add_f64 v[122:123], v[122:123], v[173:174]
	v_fma_f64 v[60:61], v[90:91], s[6:7], v[60:61]
	v_fma_f64 v[90:91], v[90:91], s[24:25], v[116:117]
	v_add_f64 v[26:27], v[108:109], v[26:27]
	v_fma_f64 v[108:109], v[74:75], s[42:43], v[146:147]
	v_add_f64 v[80:81], v[164:165], v[80:81]
	v_mul_f64 v[181:182], v[118:119], s[30:31]
	v_mul_f64 v[128:129], v[148:149], s[10:11]
	v_add_f64 v[30:31], v[144:145], v[30:31]
	v_mul_f64 v[70:71], v[118:119], s[48:49]
	v_mul_f64 v[84:85], v[148:149], s[26:27]
	;; [unrolled: 1-line block ×5, first 2 shown]
	v_add_f64 v[18:19], v[138:139], v[28:29]
	v_fma_f64 v[116:117], v[78:79], s[14:15], -v[132:133]
	v_add_f64 v[66:67], v[104:105], v[66:67]
	v_fma_f64 v[104:105], v[74:75], s[18:19], v[98:99]
	v_fma_f64 v[154:155], v[78:79], s[20:21], -v[152:153]
	v_add_f64 v[166:167], v[189:190], v[166:167]
	v_add_f64 v[22:23], v[160:161], v[134:135]
	;; [unrolled: 1-line block ×3, first 2 shown]
	v_fma_f64 v[189:190], v[74:75], s[50:51], v[211:212]
	v_fma_f64 v[110:111], v[78:79], s[34:35], v[106:107]
	v_fma_f64 v[106:107], v[78:79], s[34:35], -v[106:107]
	v_add_f64 v[58:59], v[185:186], v[58:59]
	v_fma_f64 v[170:171], v[74:75], s[30:31], v[211:212]
	v_fma_f64 v[34:35], v[74:75], s[46:47], v[98:99]
	v_add_f64 v[32:33], v[92:93], v[32:33]
	v_fma_f64 v[92:93], v[78:79], s[20:21], v[152:153]
	v_add_f64 v[60:61], v[60:61], v[122:123]
	;; [unrolled: 2-line block ×4, first 2 shown]
	v_add_f64 v[10:11], v[14:15], v[10:11]
	v_add_f64 v[14:15], v[12:13], v[8:9]
	v_add_f64 v[80:81], v[108:109], v[80:81]
	v_add_f64 v[108:109], v[114:115], v[140:141]
	v_add_f64 v[30:31], v[96:97], v[30:31]
	v_add_f64 v[86:87], v[86:87], -v[112:113]
	v_add_f64 v[18:19], v[124:125], v[18:19]
	v_fma_f64 v[90:91], v[76:77], s[40:41], v[148:149]
	v_fma_f64 v[94:95], v[82:83], s[6:7], -v[118:119]
	v_add_f64 v[22:23], v[116:117], v[22:23]
	v_fma_f64 v[158:159], v[76:77], s[50:51], v[120:121]
	v_fma_f64 v[120:121], v[76:77], s[30:31], v[120:121]
	v_fma_f64 v[98:99], v[76:77], s[28:29], v[84:85]
	v_add_f64 v[66:67], v[104:105], v[66:67]
	v_fma_f64 v[104:105], v[82:83], s[26:27], -v[173:174]
	v_add_f64 v[96:97], v[154:155], v[28:29]
	v_add_f64 v[166:167], v[189:190], v[166:167]
	v_fma_f64 v[136:137], v[76:77], s[16:17], v[128:129]
	v_fma_f64 v[128:129], v[76:77], s[48:49], v[128:129]
	v_fma_f64 v[142:143], v[82:83], s[10:11], -v[70:71]
	v_add_f64 v[62:63], v[106:107], v[62:63]
	v_add_f64 v[16:17], v[168:169], v[56:57]
	v_fma_f64 v[168:169], v[82:83], s[34:35], -v[181:182]
	v_fma_f64 v[56:57], v[82:83], s[14:15], v[126:127]
	v_fma_f64 v[126:127], v[82:83], s[14:15], -v[126:127]
	v_add_f64 v[68:69], v[203:204], v[68:69]
	v_add_f64 v[175:176], v[213:214], v[175:176]
	v_fma_f64 v[156:157], v[82:83], s[34:35], v[181:182]
	v_add_f64 v[106:107], v[170:171], v[36:37]
	v_fma_f64 v[70:71], v[82:83], s[10:11], v[70:71]
	;; [unrolled: 2-line block ×6, first 2 shown]
	v_add_f64 v[78:79], v[78:79], v[26:27]
	v_add_f64 v[36:37], v[10:11], v[6:7]
	;; [unrolled: 1-line block ×23, first 2 shown]
	v_lshl_add_u32 v4, v100, 8, v172
	ds_write_b128 v4, v[34:37]
	ds_write_b128 v4, v[30:33] offset:16
	ds_write_b128 v4, v[26:29] offset:32
	ds_write_b128 v4, v[22:25] offset:48
	ds_write_b128 v4, v[10:13] offset:64
	ds_write_b128 v4, v[6:9] offset:80
	ds_write_b128 v4, v[18:21] offset:96
	ds_write_b128 v4, v[52:55] offset:112
	ds_write_b128 v4, v[48:51] offset:128
	ds_write_b128 v4, v[44:47] offset:144
	ds_write_b128 v4, v[40:43] offset:160
	ds_write_b128 v4, v[14:17] offset:176
	ds_write_b128 v4, v[56:59] offset:192
	ds_write_b128 v4, v[60:63] offset:208
	ds_write_b128 v4, v[64:67] offset:224
	ds_write_b128 v4, v[68:71] offset:240
	ds_write_b128 v4, v[0:3] offset:256
.LBB0_13:
	s_or_b32 exec_lo, exec_lo, s33
	v_add_nc_u16 v105, v100, 0x66
	v_and_b32_e32 v4, 0xff, v100
	v_add_nc_u32_e32 v107, 0x132, v100
	v_mov_b32_e32 v8, 0xf0f1
	v_add_nc_u32_e32 v108, 0xcc, v100
	v_and_b32_e32 v112, 0xff, v105
	v_mul_lo_u16 v135, 0xf1, v4
	v_add_nc_u32_e32 v106, 0x198, v100
	v_mul_u32_u24_sdwa v110, v107, v8 dst_sel:DWORD dst_unused:UNUSED_PAD src0_sel:WORD_0 src1_sel:DWORD
	v_mul_u32_u24_sdwa v111, v108, v8 dst_sel:DWORD dst_unused:UNUSED_PAD src0_sel:WORD_0 src1_sel:DWORD
	v_mul_lo_u16 v117, 0xf1, v112
	v_add_nc_u32_e32 v101, 0x1fe, v100
	v_lshrrev_b16 v119, 12, v135
	v_add_nc_u32_e32 v113, 0x264, v100
	v_mul_u32_u24_sdwa v109, v106, v8 dst_sel:DWORD dst_unused:UNUSED_PAD src0_sel:WORD_0 src1_sel:DWORD
	v_lshrrev_b16 v116, 12, v117
	v_lshrrev_b32_e32 v127, 20, v110
	v_add_nc_u32_e32 v114, 0x2ca, v100
	v_lshrrev_b32_e32 v120, 20, v111
	v_mul_lo_u16 v4, v119, 17
	v_mul_u32_u24_sdwa v129, v101, v8 dst_sel:DWORD dst_unused:UNUSED_PAD src0_sel:WORD_0 src1_sel:DWORD
	v_mul_lo_u16 v5, v116, 17
	v_mul_u32_u24_sdwa v130, v113, v8 dst_sel:DWORD dst_unused:UNUSED_PAD src0_sel:WORD_0 src1_sel:DWORD
	v_mul_lo_u16 v9, v127, 17
	v_lshrrev_b32_e32 v128, 20, v109
	v_mul_lo_u16 v6, v120, 17
	v_mul_u32_u24_sdwa v134, v114, v8 dst_sel:DWORD dst_unused:UNUSED_PAD src0_sel:WORD_0 src1_sel:DWORD
	v_mov_b32_e32 v104, 4
	v_sub_nc_u16 v4, v100, v4
	v_lshrrev_b32_e32 v131, 20, v129
	v_sub_nc_u16 v5, v105, v5
	v_lshrrev_b32_e32 v132, 20, v130
	v_sub_nc_u16 v8, v107, v9
	v_mul_lo_u16 v9, v128, 17
	v_sub_nc_u16 v6, v108, v6
	v_lshrrev_b32_e32 v133, 20, v134
	v_lshlrev_b32_sdwa v118, v104, v4 dst_sel:DWORD dst_unused:UNUSED_PAD src0_sel:DWORD src1_sel:BYTE_0
	v_mul_lo_u16 v10, v131, 17
	v_lshlrev_b32_sdwa v115, v104, v5 dst_sel:DWORD dst_unused:UNUSED_PAD src0_sel:DWORD src1_sel:BYTE_0
	v_mul_lo_u16 v11, v132, 17
	v_lshlrev_b32_sdwa v124, v104, v8 dst_sel:DWORD dst_unused:UNUSED_PAD src0_sel:DWORD src1_sel:WORD_0
	v_sub_nc_u16 v8, v106, v9
	v_lshlrev_b32_sdwa v121, v104, v6 dst_sel:DWORD dst_unused:UNUSED_PAD src0_sel:DWORD src1_sel:WORD_0
	v_mul_lo_u16 v9, v133, 17
	s_waitcnt lgkmcnt(0)
	s_barrier
	buffer_gl0_inv
	s_clause 0x1
	global_load_dwordx4 v[24:27], v118, s[8:9]
	global_load_dwordx4 v[4:7], v115, s[8:9]
	v_sub_nc_u16 v10, v101, v10
	v_sub_nc_u16 v11, v113, v11
	v_lshlrev_b32_sdwa v125, v104, v8 dst_sel:DWORD dst_unused:UNUSED_PAD src0_sel:DWORD src1_sel:WORD_0
	s_clause 0x1
	global_load_dwordx4 v[44:47], v121, s[8:9]
	global_load_dwordx4 v[56:59], v124, s[8:9]
	v_sub_nc_u16 v8, v114, v9
	v_lshlrev_b32_sdwa v126, v104, v10 dst_sel:DWORD dst_unused:UNUSED_PAD src0_sel:DWORD src1_sel:WORD_0
	v_lshlrev_b32_sdwa v122, v104, v11 dst_sel:DWORD dst_unused:UNUSED_PAD src0_sel:DWORD src1_sel:WORD_0
	global_load_dwordx4 v[60:63], v125, s[8:9]
	v_mov_b32_e32 v141, 0x220
	v_lshlrev_b32_sdwa v123, v104, v8 dst_sel:DWORD dst_unused:UNUSED_PAD src0_sel:DWORD src1_sel:WORD_0
	s_clause 0x2
	global_load_dwordx4 v[64:67], v126, s[8:9]
	global_load_dwordx4 v[52:55], v122, s[8:9]
	;; [unrolled: 1-line block ×3, first 2 shown]
	ds_read_b128 v[28:31], v172
	ds_read_b128 v[8:11], v172 offset:1632
	ds_read_b128 v[84:87], v172 offset:13056
	;; [unrolled: 1-line block ×15, first 2 shown]
	v_mul_u32_u24_sdwa v149, v119, v141 dst_sel:DWORD dst_unused:UNUSED_PAD src0_sel:WORD_0 src1_sel:DWORD
	v_mul_u32_u24_e32 v150, 0x220, v120
	v_lshrrev_b32_e32 v146, 21, v129
	v_lshrrev_b32_e32 v147, 21, v130
	v_mul_u32_u24_e32 v151, 0x220, v127
	v_mul_u32_u24_e32 v152, 0x220, v128
	;; [unrolled: 1-line block ×4, first 2 shown]
	v_lshrrev_b32_e32 v148, 21, v134
	v_mul_u32_u24_e32 v155, 0x220, v133
	v_lshrrev_b16 v142, 13, v135
	v_lshrrev_b16 v157, 13, v117
	v_lshrrev_b32_e32 v143, 21, v111
	v_lshrrev_b32_e32 v144, 21, v110
	v_mul_u32_u24_sdwa v116, v116, v141 dst_sel:DWORD dst_unused:UNUSED_PAD src0_sel:WORD_0 src1_sel:DWORD
	v_mul_lo_u16 v156, v142, 34
	v_lshrrev_b32_e32 v145, 21, v109
	v_mul_lo_u16 v117, v143, 34
	v_mul_lo_u16 v158, v144, 34
	;; [unrolled: 1-line block ×3, first 2 shown]
	v_sub_nc_u16 v141, v100, v156
	v_mul_lo_u16 v156, v157, 34
	v_mul_lo_u16 v159, v145, 34
	v_sub_nc_u16 v117, v108, v117
	v_sub_nc_u16 v158, v107, v158
	v_mul_lo_u16 v161, v147, 34
	v_mul_lo_u16 v162, v148, 34
	s_waitcnt vmcnt(0) lgkmcnt(0)
	s_barrier
	buffer_gl0_inv
	v_cmp_gt_u32_e64 s0, 34, v100
	v_mul_f64 v[119:120], v[86:87], v[26:27]
	v_mul_f64 v[26:27], v[84:85], v[26:27]
	;; [unrolled: 1-line block ×16, first 2 shown]
	v_fma_f64 v[84:85], v[84:85], v[24:25], -v[119:120]
	v_fma_f64 v[24:25], v[86:87], v[24:25], v[26:27]
	v_fma_f64 v[68:69], v[68:69], v[4:5], -v[129:130]
	v_fma_f64 v[70:71], v[70:71], v[4:5], v[6:7]
	v_mov_b32_e32 v129, 0x440
	v_fma_f64 v[26:27], v[88:89], v[44:45], -v[127:128]
	v_fma_f64 v[86:87], v[90:91], v[44:45], v[46:47]
	v_fma_f64 v[72:73], v[72:73], v[56:57], -v[131:132]
	v_fma_f64 v[56:57], v[74:75], v[56:57], v[58:59]
	v_sub_nc_u16 v88, v105, v156
	v_fma_f64 v[58:59], v[92:93], v[60:61], -v[133:134]
	v_fma_f64 v[60:61], v[94:95], v[60:61], v[62:63]
	v_lshlrev_b32_sdwa v127, v104, v141 dst_sel:DWORD dst_unused:UNUSED_PAD src0_sel:DWORD src1_sel:BYTE_0
	v_fma_f64 v[62:63], v[76:77], v[64:65], -v[135:136]
	v_fma_f64 v[64:65], v[78:79], v[64:65], v[66:67]
	v_fma_f64 v[66:67], v[96:97], v[52:53], -v[137:138]
	v_fma_f64 v[74:75], v[98:99], v[52:53], v[54:55]
	;; [unrolled: 2-line block ×3, first 2 shown]
	v_sub_nc_u16 v80, v106, v159
	v_lshlrev_b32_sdwa v128, v104, v117 dst_sel:DWORD dst_unused:UNUSED_PAD src0_sel:DWORD src1_sel:WORD_0
	v_sub_nc_u16 v81, v101, v160
	v_add_f64 v[4:5], v[28:29], -v[84:85]
	v_add_f64 v[6:7], v[30:31], -v[24:25]
	;; [unrolled: 1-line block ×4, first 2 shown]
	v_add3_u32 v68, 0, v149, v118
	v_add_f64 v[24:25], v[32:33], -v[26:27]
	v_add_f64 v[26:27], v[34:35], -v[86:87]
	;; [unrolled: 1-line block ×4, first 2 shown]
	v_add3_u32 v69, 0, v150, v121
	v_add_f64 v[52:53], v[36:37], -v[58:59]
	v_add_f64 v[54:55], v[38:39], -v[60:61]
	v_lshlrev_b32_sdwa v121, v104, v88 dst_sel:DWORD dst_unused:UNUSED_PAD src0_sel:DWORD src1_sel:BYTE_0
	v_add_f64 v[56:57], v[16:17], -v[62:63]
	v_add_f64 v[58:59], v[18:19], -v[64:65]
	v_add_f64 v[60:61], v[40:41], -v[66:67]
	v_add_f64 v[62:63], v[42:43], -v[74:75]
	v_add_f64 v[64:65], v[20:21], -v[76:77]
	v_add_f64 v[66:67], v[22:23], -v[78:79]
	v_add3_u32 v75, 0, v116, v115
	v_add3_u32 v70, 0, v151, v124
	;; [unrolled: 1-line block ×3, first 2 shown]
	v_fma_f64 v[28:29], v[28:29], 2.0, -v[4:5]
	v_fma_f64 v[30:31], v[30:31], 2.0, -v[6:7]
	;; [unrolled: 1-line block ×4, first 2 shown]
	v_add3_u32 v72, 0, v153, v126
	v_fma_f64 v[32:33], v[32:33], 2.0, -v[24:25]
	v_fma_f64 v[34:35], v[34:35], 2.0, -v[26:27]
	;; [unrolled: 1-line block ×4, first 2 shown]
	v_add3_u32 v73, 0, v154, v122
	v_fma_f64 v[36:37], v[36:37], 2.0, -v[52:53]
	v_fma_f64 v[38:39], v[38:39], 2.0, -v[54:55]
	v_add3_u32 v74, 0, v155, v123
	v_fma_f64 v[16:17], v[16:17], 2.0, -v[56:57]
	v_fma_f64 v[18:19], v[18:19], 2.0, -v[58:59]
	;; [unrolled: 1-line block ×6, first 2 shown]
	ds_write_b128 v68, v[4:7] offset:272
	ds_write_b128 v68, v[28:31]
	ds_write_b128 v75, v[44:47] offset:272
	ds_write_b128 v75, v[8:11]
	ds_write_b128 v69, v[32:35]
	ds_write_b128 v69, v[24:27] offset:272
	ds_write_b128 v70, v[12:15]
	ds_write_b128 v70, v[48:51] offset:272
	ds_write_b128 v71, v[36:39]
	ds_write_b128 v71, v[52:55] offset:272
	ds_write_b128 v72, v[16:19]
	ds_write_b128 v72, v[56:59] offset:272
	ds_write_b128 v73, v[40:43]
	ds_write_b128 v73, v[60:63] offset:272
	ds_write_b128 v74, v[20:23]
	ds_write_b128 v74, v[64:67] offset:272
	s_waitcnt lgkmcnt(0)
	s_barrier
	buffer_gl0_inv
	global_load_dwordx4 v[4:7], v127, s[8:9] offset:272
	v_lshlrev_b32_sdwa v122, v104, v158 dst_sel:DWORD dst_unused:UNUSED_PAD src0_sel:DWORD src1_sel:WORD_0
	global_load_dwordx4 v[8:11], v121, s[8:9] offset:272
	v_sub_nc_u16 v82, v113, v161
	v_lshlrev_b32_sdwa v123, v104, v80 dst_sel:DWORD dst_unused:UNUSED_PAD src0_sel:DWORD src1_sel:WORD_0
	v_sub_nc_u16 v83, v114, v162
	s_clause 0x1
	global_load_dwordx4 v[16:19], v122, s[8:9] offset:272
	global_load_dwordx4 v[12:15], v128, s[8:9] offset:272
	v_lshlrev_b32_sdwa v124, v104, v81 dst_sel:DWORD dst_unused:UNUSED_PAD src0_sel:DWORD src1_sel:WORD_0
	v_lshlrev_b32_sdwa v125, v104, v82 dst_sel:DWORD dst_unused:UNUSED_PAD src0_sel:DWORD src1_sel:WORD_0
	global_load_dwordx4 v[20:23], v123, s[8:9] offset:272
	v_lshlrev_b32_sdwa v126, v104, v83 dst_sel:DWORD dst_unused:UNUSED_PAD src0_sel:DWORD src1_sel:WORD_0
	s_clause 0x2
	global_load_dwordx4 v[24:27], v124, s[8:9] offset:272
	global_load_dwordx4 v[28:31], v125, s[8:9] offset:272
	;; [unrolled: 1-line block ×3, first 2 shown]
	ds_read_b128 v[36:39], v172 offset:13056
	ds_read_b128 v[40:43], v172 offset:14688
	;; [unrolled: 1-line block ×8, first 2 shown]
	ds_read_b128 v[68:71], v172
	ds_read_b128 v[72:75], v172 offset:1632
	ds_read_b128 v[76:79], v172 offset:3264
	;; [unrolled: 1-line block ×5, first 2 shown]
	v_mul_u32_u24_sdwa v130, v142, v129 dst_sel:DWORD dst_unused:UNUSED_PAD src0_sel:WORD_0 src1_sel:DWORD
	s_waitcnt vmcnt(7) lgkmcnt(13)
	v_mul_f64 v[92:93], v[38:39], v[6:7]
	v_mul_f64 v[6:7], v[36:37], v[6:7]
	s_waitcnt vmcnt(6) lgkmcnt(12)
	v_mul_f64 v[94:95], v[42:43], v[10:11]
	v_mul_f64 v[10:11], v[40:41], v[10:11]
	s_waitcnt vmcnt(5) lgkmcnt(10)
	v_mul_f64 v[98:99], v[50:51], v[18:19]
	s_waitcnt vmcnt(4)
	v_mul_f64 v[96:97], v[46:47], v[14:15]
	v_mul_f64 v[14:15], v[44:45], v[14:15]
	;; [unrolled: 1-line block ×3, first 2 shown]
	s_waitcnt vmcnt(3) lgkmcnt(9)
	v_mul_f64 v[113:114], v[54:55], v[22:23]
	v_mul_f64 v[22:23], v[52:53], v[22:23]
	s_waitcnt vmcnt(2) lgkmcnt(8)
	v_mul_f64 v[115:116], v[58:59], v[26:27]
	v_mul_f64 v[26:27], v[56:57], v[26:27]
	;; [unrolled: 3-line block ×4, first 2 shown]
	v_fma_f64 v[36:37], v[36:37], v[4:5], -v[92:93]
	v_fma_f64 v[4:5], v[38:39], v[4:5], v[6:7]
	v_fma_f64 v[6:7], v[40:41], v[8:9], -v[94:95]
	v_fma_f64 v[38:39], v[42:43], v[8:9], v[10:11]
	ds_read_b128 v[8:11], v172 offset:9792
	v_mul_u32_u24_sdwa v95, v157, v129 dst_sel:DWORD dst_unused:UNUSED_PAD src0_sel:WORD_0 src1_sel:DWORD
	v_mul_u32_u24_e32 v92, 0x440, v146
	v_fma_f64 v[40:41], v[44:45], v[12:13], -v[96:97]
	v_fma_f64 v[42:43], v[46:47], v[12:13], v[14:15]
	ds_read_b128 v[12:15], v172 offset:11424
	v_fma_f64 v[44:45], v[48:49], v[16:17], -v[98:99]
	v_fma_f64 v[46:47], v[50:51], v[16:17], v[18:19]
	v_fma_f64 v[48:49], v[52:53], v[20:21], -v[113:114]
	v_fma_f64 v[50:51], v[54:55], v[20:21], v[22:23]
	;; [unrolled: 2-line block ×5, first 2 shown]
	v_mul_u32_u24_e32 v64, 0x440, v143
	v_mul_u32_u24_e32 v65, 0x440, v144
	s_waitcnt lgkmcnt(7)
	v_add_f64 v[16:17], v[68:69], -v[36:37]
	v_add_f64 v[18:19], v[70:71], -v[4:5]
	s_waitcnt lgkmcnt(6)
	v_add_f64 v[20:21], v[72:73], -v[6:7]
	v_add_f64 v[22:23], v[74:75], -v[38:39]
	v_mul_u32_u24_e32 v66, 0x440, v145
	v_add3_u32 v97, 0, v64, v128
	v_add3_u32 v98, 0, v65, v122
	s_waitcnt lgkmcnt(5)
	v_add_f64 v[24:25], v[76:77], -v[40:41]
	v_add_f64 v[26:27], v[78:79], -v[42:43]
	v_add3_u32 v99, 0, v66, v123
	s_waitcnt lgkmcnt(4)
	v_add_f64 v[28:29], v[80:81], -v[44:45]
	v_add_f64 v[30:31], v[82:83], -v[46:47]
	s_waitcnt lgkmcnt(3)
	v_add_f64 v[32:33], v[84:85], -v[48:49]
	v_add_f64 v[34:35], v[86:87], -v[50:51]
	;; [unrolled: 3-line block ×5, first 2 shown]
	v_mul_u32_u24_e32 v93, 0x440, v147
	v_mul_u32_u24_e32 v94, 0x440, v148
	v_fma_f64 v[44:45], v[68:69], 2.0, -v[16:17]
	v_fma_f64 v[46:47], v[70:71], 2.0, -v[18:19]
	;; [unrolled: 1-line block ×4, first 2 shown]
	v_add3_u32 v96, 0, v130, v127
	v_add3_u32 v71, 0, v95, v121
	;; [unrolled: 1-line block ×3, first 2 shown]
	v_fma_f64 v[52:53], v[76:77], 2.0, -v[24:25]
	v_fma_f64 v[54:55], v[78:79], 2.0, -v[26:27]
	v_add3_u32 v69, 0, v93, v125
	v_fma_f64 v[56:57], v[80:81], 2.0, -v[28:29]
	v_fma_f64 v[58:59], v[82:83], 2.0, -v[30:31]
	;; [unrolled: 1-line block ×10, first 2 shown]
	v_add3_u32 v70, 0, v94, v126
	s_barrier
	buffer_gl0_inv
	ds_write_b128 v96, v[16:19] offset:544
	ds_write_b128 v96, v[44:47]
	ds_write_b128 v71, v[48:51]
	ds_write_b128 v71, v[20:23] offset:544
	ds_write_b128 v97, v[52:55]
	ds_write_b128 v97, v[24:27] offset:544
	;; [unrolled: 2-line block ×7, first 2 shown]
	s_waitcnt lgkmcnt(0)
	s_barrier
	buffer_gl0_inv
	ds_read_b128 v[12:15], v172
	ds_read_b128 v[16:19], v172 offset:1632
	ds_read_b128 v[36:39], v172 offset:17408
	;; [unrolled: 1-line block ×14, first 2 shown]
                                        ; implicit-def: $vgpr10_vgpr11
	s_and_saveexec_b32 s1, s0
	s_cbranch_execz .LBB0_15
; %bb.14:
	ds_read_b128 v[4:7], v172 offset:8160
	ds_read_b128 v[0:3], v172 offset:16864
	ds_read_b128 v[8:11], v172 offset:25568
.LBB0_15:
	s_or_b32 exec_lo, exec_lo, s1
	v_add_nc_u32_e32 v72, 0xffffffbc, v100
	v_mul_lo_u16 v73, 0x79, v112
	v_lshrrev_b32_e32 v117, 22, v111
	v_cmp_gt_u32_e64 s1, 0x44, v100
	v_lshrrev_b32_e32 v118, 22, v110
	v_lshrrev_b32_e32 v121, 22, v109
	v_lshrrev_b16 v120, 13, v73
	v_mul_lo_u16 v73, 0x44, v117
	v_cndmask_b32_e64 v119, v72, v100, s1
	v_mul_lo_u16 v74, 0x44, v118
	v_mul_lo_u16 v87, 0x44, v121
	;; [unrolled: 1-line block ×3, first 2 shown]
	v_sub_nc_u16 v137, v108, v73
	v_lshlrev_b32_e32 v72, 1, v119
	v_mov_b32_e32 v73, 0
	v_mov_b32_e32 v96, 5
	v_sub_nc_u16 v138, v107, v74
	v_sub_nc_u16 v139, v105, v75
	;; [unrolled: 1-line block ×3, first 2 shown]
	v_lshlrev_b64 v[84:85], 4, v[72:73]
	v_lshlrev_b32_sdwa v76, v96, v137 dst_sel:DWORD dst_unused:UNUSED_PAD src0_sel:DWORD src1_sel:WORD_0
	v_lshlrev_b32_sdwa v86, v96, v138 dst_sel:DWORD dst_unused:UNUSED_PAD src0_sel:DWORD src1_sel:WORD_0
	v_lshlrev_b32_sdwa v92, v96, v139 dst_sel:DWORD dst_unused:UNUSED_PAD src0_sel:DWORD src1_sel:BYTE_0
	v_lshlrev_b32_sdwa v113, v96, v140 dst_sel:DWORD dst_unused:UNUSED_PAD src0_sel:DWORD src1_sel:WORD_0
	s_clause 0x2
	global_load_dwordx4 v[72:75], v76, s[8:9] offset:832
	global_load_dwordx4 v[76:79], v76, s[8:9] offset:816
	;; [unrolled: 1-line block ×3, first 2 shown]
	v_add_co_u32 v105, s1, s8, v84
	v_add_co_ci_u32_e64 v106, s1, s9, v85, s1
	s_clause 0x6
	global_load_dwordx4 v[84:87], v86, s[8:9] offset:832
	global_load_dwordx4 v[88:91], v92, s[8:9] offset:832
	;; [unrolled: 1-line block ×3, first 2 shown]
	global_load_dwordx4 v[96:99], v[105:106], off offset:816
	global_load_dwordx4 v[105:108], v[105:106], off offset:832
	global_load_dwordx4 v[109:112], v113, s[8:9] offset:816
	global_load_dwordx4 v[113:116], v113, s[8:9] offset:832
	v_mov_b32_e32 v122, 0xcc0
	v_mul_u32_u24_e32 v142, 0xcc0, v117
	v_mul_u32_u24_e32 v143, 0xcc0, v118
	v_lshlrev_b32_e32 v145, 4, v119
	v_mul_u32_u24_e32 v144, 0xcc0, v121
	v_mul_u32_u24_sdwa v146, v120, v122 dst_sel:DWORD dst_unused:UNUSED_PAD src0_sel:WORD_0 src1_sel:DWORD
	v_lshlrev_b32_sdwa v137, v104, v137 dst_sel:DWORD dst_unused:UNUSED_PAD src0_sel:DWORD src1_sel:WORD_0
	s_mov_b32 s4, 0xe8584caa
	s_mov_b32 s5, 0x3febb67a
	s_mov_b32 s7, 0xbfebb67a
	s_mov_b32 s6, s4
	v_cmp_lt_u32_e64 s1, 0x43, v100
	s_waitcnt vmcnt(0) lgkmcnt(0)
	s_barrier
	buffer_gl0_inv
	v_cndmask_b32_e64 v141, 0, 0xcc0, s1
	v_add3_u32 v141, 0, v141, v145
	v_mul_f64 v[119:120], v[66:67], v[74:75]
	v_mul_f64 v[117:118], v[58:59], v[78:79]
	;; [unrolled: 1-line block ×20, first 2 shown]
	v_fma_f64 v[64:65], v[64:65], v[72:73], -v[119:120]
	v_fma_f64 v[56:57], v[56:57], v[76:77], -v[117:118]
	v_fma_f64 v[58:59], v[58:59], v[76:77], v[78:79]
	v_fma_f64 v[66:67], v[66:67], v[72:73], v[74:75]
	v_fma_f64 v[68:69], v[68:69], v[80:81], -v[121:122]
	v_fma_f64 v[70:71], v[70:71], v[80:81], v[82:83]
	v_fma_f64 v[32:33], v[32:33], v[88:89], -v[127:128]
	v_fma_f64 v[52:53], v[52:53], v[96:97], -v[129:130]
	;; [unrolled: 1-line block ×3, first 2 shown]
	v_fma_f64 v[54:55], v[54:55], v[96:97], v[98:99]
	v_fma_f64 v[38:39], v[38:39], v[105:106], v[107:108]
	v_fma_f64 v[40:41], v[40:41], v[92:93], -v[125:126]
	v_fma_f64 v[42:43], v[42:43], v[92:93], v[94:95]
	v_fma_f64 v[34:35], v[34:35], v[88:89], v[90:91]
	v_fma_f64 v[60:61], v[60:61], v[84:85], -v[123:124]
	v_fma_f64 v[62:63], v[62:63], v[84:85], v[86:87]
	v_fma_f64 v[48:49], v[48:49], v[109:110], -v[133:134]
	;; [unrolled: 2-line block ×3, first 2 shown]
	v_fma_f64 v[46:47], v[46:47], v[113:114], v[115:116]
	v_lshlrev_b32_sdwa v116, v104, v138 dst_sel:DWORD dst_unused:UNUSED_PAD src0_sel:DWORD src1_sel:WORD_0
	v_lshlrev_b32_sdwa v117, v104, v140 dst_sel:DWORD dst_unused:UNUSED_PAD src0_sel:DWORD src1_sel:WORD_0
	v_lshlrev_b32_sdwa v118, v104, v139 dst_sel:DWORD dst_unused:UNUSED_PAD src0_sel:DWORD src1_sel:BYTE_0
	v_add_f64 v[72:73], v[28:29], v[56:57]
	v_add_f64 v[74:75], v[56:57], v[64:65]
	v_add_f64 v[76:77], v[58:59], -v[66:67]
	v_add_f64 v[78:79], v[30:31], v[58:59]
	v_add_f64 v[58:59], v[58:59], v[66:67]
	;; [unrolled: 1-line block ×8, first 2 shown]
	v_add_f64 v[112:113], v[40:41], -v[32:33]
	v_add_f64 v[94:95], v[42:43], v[34:35]
	v_add_f64 v[82:83], v[68:69], v[60:61]
	v_add_f64 v[84:85], v[70:71], -v[62:63]
	v_add_f64 v[70:71], v[70:71], v[62:63]
	v_add_f64 v[106:107], v[26:27], v[50:51]
	;; [unrolled: 1-line block ×3, first 2 shown]
	v_add_f64 v[104:105], v[50:51], -v[46:47]
	v_add_f64 v[50:51], v[50:51], v[46:47]
	v_add_f64 v[96:97], v[24:25], v[48:49]
	v_add_f64 v[108:109], v[48:49], -v[44:45]
	v_add_f64 v[48:49], v[16:17], v[40:41]
	v_add_f64 v[40:41], v[12:13], v[52:53]
	v_add_f64 v[54:55], v[54:55], -v[38:39]
	v_add_f64 v[52:53], v[52:53], -v[36:37]
	;; [unrolled: 1-line block ×3, first 2 shown]
	v_add_f64 v[42:43], v[18:19], v[42:43]
	v_add_f64 v[56:57], v[56:57], -v[64:65]
	v_fma_f64 v[88:89], v[88:89], -0.5, v[12:13]
	v_add_f64 v[12:13], v[72:73], v[64:65]
	v_fma_f64 v[92:93], v[92:93], -0.5, v[14:15]
	v_fma_f64 v[86:87], v[86:87], -0.5, v[16:17]
	;; [unrolled: 1-line block ×5, first 2 shown]
	v_add_f64 v[68:69], v[68:69], -v[60:61]
	v_add_f64 v[16:17], v[80:81], v[60:61]
	v_fma_f64 v[60:61], v[82:83], -0.5, v[20:21]
	v_add_f64 v[18:19], v[90:91], v[62:63]
	v_fma_f64 v[62:63], v[70:71], -0.5, v[22:23]
	;; [unrolled: 2-line block ×3, first 2 shown]
	v_fma_f64 v[70:71], v[50:51], -0.5, v[26:27]
	v_add_f64 v[30:31], v[114:115], v[38:39]
	v_add_f64 v[28:29], v[40:41], v[36:37]
	;; [unrolled: 1-line block ×6, first 2 shown]
	v_add3_u32 v72, 0, v142, v137
	v_fma_f64 v[44:45], v[54:55], s[4:5], v[88:89]
	v_fma_f64 v[48:49], v[54:55], s[6:7], v[88:89]
	v_fma_f64 v[46:47], v[52:53], s[6:7], v[92:93]
	v_fma_f64 v[50:51], v[52:53], s[4:5], v[92:93]
	v_fma_f64 v[40:41], v[110:111], s[4:5], v[86:87]
	v_fma_f64 v[42:43], v[112:113], s[6:7], v[64:65]
	v_fma_f64 v[52:53], v[110:111], s[6:7], v[86:87]
	v_fma_f64 v[54:55], v[112:113], s[4:5], v[64:65]
	v_fma_f64 v[32:33], v[76:77], s[4:5], v[74:75]
	v_fma_f64 v[34:35], v[56:57], s[6:7], v[58:59]
	v_fma_f64 v[36:37], v[76:77], s[6:7], v[74:75]
	v_fma_f64 v[38:39], v[56:57], s[4:5], v[58:59]
	v_fma_f64 v[56:57], v[84:85], s[4:5], v[60:61]
	v_fma_f64 v[58:59], v[68:69], s[6:7], v[62:63]
	v_fma_f64 v[60:61], v[84:85], s[6:7], v[60:61]
	v_fma_f64 v[62:63], v[68:69], s[4:5], v[62:63]
	v_fma_f64 v[64:65], v[104:105], s[4:5], v[66:67]
	v_fma_f64 v[68:69], v[104:105], s[6:7], v[66:67]
	v_fma_f64 v[66:67], v[108:109], s[6:7], v[70:71]
	v_fma_f64 v[70:71], v[108:109], s[4:5], v[70:71]
	v_add3_u32 v75, 0, v146, v118
	v_add3_u32 v73, 0, v143, v116
	;; [unrolled: 1-line block ×3, first 2 shown]
	ds_write_b128 v141, v[28:31]
	ds_write_b128 v141, v[44:47] offset:1088
	ds_write_b128 v141, v[48:51] offset:2176
	ds_write_b128 v75, v[24:27]
	ds_write_b128 v75, v[40:43] offset:1088
	ds_write_b128 v75, v[52:55] offset:2176
	;; [unrolled: 3-line block ×5, first 2 shown]
	s_and_saveexec_b32 s1, s0
	s_cbranch_execz .LBB0_17
; %bb.16:
	v_mov_b32_e32 v12, 0xf0f1
	v_mul_u32_u24_sdwa v12, v101, v12 dst_sel:DWORD dst_unused:UNUSED_PAD src0_sel:WORD_0 src1_sel:DWORD
	v_lshrrev_b32_e32 v12, 22, v12
	v_mul_lo_u16 v12, 0x44, v12
	v_sub_nc_u16 v12, v101, v12
	v_and_b32_e32 v24, 0xffff, v12
	v_lshlrev_b32_e32 v16, 5, v24
	s_clause 0x1
	global_load_dwordx4 v[12:15], v16, s[8:9] offset:816
	global_load_dwordx4 v[16:19], v16, s[8:9] offset:832
	s_waitcnt vmcnt(1)
	v_mul_f64 v[20:21], v[0:1], v[14:15]
	s_waitcnt vmcnt(0)
	v_mul_f64 v[22:23], v[8:9], v[18:19]
	v_mul_f64 v[14:15], v[2:3], v[14:15]
	;; [unrolled: 1-line block ×3, first 2 shown]
	v_fma_f64 v[2:3], v[2:3], v[12:13], v[20:21]
	v_fma_f64 v[10:11], v[10:11], v[16:17], v[22:23]
	v_fma_f64 v[0:1], v[0:1], v[12:13], -v[14:15]
	v_fma_f64 v[8:9], v[8:9], v[16:17], -v[18:19]
	v_add_f64 v[18:19], v[6:7], v[2:3]
	v_add_f64 v[12:13], v[2:3], v[10:11]
	v_add_f64 v[20:21], v[2:3], -v[10:11]
	v_add_f64 v[14:15], v[0:1], v[8:9]
	v_add_f64 v[16:17], v[0:1], -v[8:9]
	v_add_f64 v[0:1], v[4:5], v[0:1]
	v_add_f64 v[2:3], v[18:19], v[10:11]
	v_fma_f64 v[12:13], v[12:13], -0.5, v[6:7]
	v_fma_f64 v[4:5], v[14:15], -0.5, v[4:5]
	v_add_f64 v[0:1], v[0:1], v[8:9]
	v_fma_f64 v[10:11], v[16:17], s[6:7], v[12:13]
	v_fma_f64 v[6:7], v[16:17], s[4:5], v[12:13]
	;; [unrolled: 1-line block ×4, first 2 shown]
	v_lshl_add_u32 v12, v24, 4, 0
	ds_write_b128 v12, v[0:3] offset:22848
	ds_write_b128 v12, v[8:11] offset:23936
	;; [unrolled: 1-line block ×3, first 2 shown]
.LBB0_17:
	s_or_b32 exec_lo, exec_lo, s1
	v_mul_u32_u24_e32 v0, 7, v100
	s_waitcnt lgkmcnt(0)
	s_barrier
	buffer_gl0_inv
	s_mov_b32 s5, 0x3fe6a09e
	v_lshlrev_b32_e32 v0, 4, v0
	v_add_co_u32 v42, s0, s8, v0
	v_add_co_ci_u32_e64 v43, null, s9, 0, s0
	v_add_co_u32 v16, s0, 0x800, v42
	v_add_co_ci_u32_e64 v17, s0, 0, v43, s0
	v_add_co_u32 v12, s0, 0xbb0, v42
	v_add_co_ci_u32_e64 v13, s0, 0, v43, s0
	;; [unrolled: 2-line block ×6, first 2 shown]
	s_clause 0xd
	global_load_dwordx4 v[0:3], v[16:17], off offset:944
	global_load_dwordx4 v[4:7], v[12:13], off offset:48
	global_load_dwordx4 v[8:11], v[12:13], off offset:32
	global_load_dwordx4 v[12:15], v[12:13], off offset:16
	global_load_dwordx4 v[16:19], v[16:17], off offset:1008
	global_load_dwordx4 v[20:23], v[24:25], off offset:16
	global_load_dwordx4 v[24:27], v[24:25], off offset:32
	global_load_dwordx4 v[28:31], v[44:45], off offset:80
	global_load_dwordx4 v[32:35], v[40:41], off offset:32
	global_load_dwordx4 v[36:39], v[40:41], off offset:16
	global_load_dwordx4 v[40:43], v[40:41], off offset:48
	global_load_dwordx4 v[44:47], v[44:45], off offset:144
	global_load_dwordx4 v[48:51], v[52:53], off offset:16
	global_load_dwordx4 v[52:55], v[52:53], off offset:32
	ds_read_b128 v[56:59], v172 offset:3264
	ds_read_b128 v[60:63], v172 offset:6528
	;; [unrolled: 1-line block ×7, first 2 shown]
	ds_read_b128 v[84:87], v172
	ds_read_b128 v[88:91], v172 offset:1632
	ds_read_b128 v[92:95], v172 offset:4896
	ds_read_b128 v[96:99], v172 offset:8160
	ds_read_b128 v[104:107], v172 offset:11424
	ds_read_b128 v[108:111], v172 offset:14688
	ds_read_b128 v[112:115], v172 offset:17952
	ds_read_b128 v[116:119], v172 offset:21216
	ds_read_b128 v[120:123], v172 offset:24480
	s_mov_b32 s0, 0x667f3bcd
	s_mov_b32 s1, 0xbfe6a09e
	;; [unrolled: 1-line block ×3, first 2 shown]
	s_waitcnt vmcnt(0) lgkmcnt(0)
	s_barrier
	buffer_gl0_inv
	v_mul_f64 v[124:125], v[58:59], v[2:3]
	v_mul_f64 v[2:3], v[56:57], v[2:3]
	;; [unrolled: 1-line block ×28, first 2 shown]
	v_fma_f64 v[56:57], v[56:57], v[0:1], -v[124:125]
	v_fma_f64 v[0:1], v[58:59], v[0:1], v[2:3]
	v_fma_f64 v[2:3], v[60:61], v[12:13], -v[126:127]
	v_fma_f64 v[12:13], v[62:63], v[12:13], v[14:15]
	;; [unrolled: 2-line block ×14, first 2 shown]
	v_add_f64 v[10:11], v[84:85], -v[10:11]
	v_add_f64 v[4:5], v[86:87], -v[4:5]
	;; [unrolled: 1-line block ×16, first 2 shown]
	v_fma_f64 v[54:55], v[84:85], 2.0, -v[10:11]
	v_fma_f64 v[58:59], v[86:87], 2.0, -v[4:5]
	;; [unrolled: 1-line block ×8, first 2 shown]
	v_add_f64 v[62:63], v[4:5], v[6:7]
	v_add_f64 v[60:61], v[10:11], -v[20:21]
	v_add_f64 v[6:7], v[22:23], -v[24:25]
	v_add_f64 v[18:19], v[16:17], v[18:19]
	v_fma_f64 v[20:21], v[88:89], 2.0, -v[38:39]
	v_fma_f64 v[24:25], v[90:91], 2.0, -v[40:41]
	;; [unrolled: 1-line block ×6, first 2 shown]
	v_add_f64 v[64:65], v[40:41], v[42:43]
	v_add_f64 v[48:49], v[38:39], -v[48:49]
	v_fma_f64 v[42:43], v[46:47], 2.0, -v[34:35]
	v_fma_f64 v[32:33], v[32:33], 2.0, -v[52:53]
	v_add_f64 v[46:47], v[50:51], -v[52:53]
	v_add_f64 v[34:35], v[44:45], v[34:35]
	v_add_f64 v[52:53], v[54:55], -v[2:3]
	v_add_f64 v[66:67], v[58:59], -v[12:13]
	v_add_f64 v[2:3], v[56:57], -v[14:15]
	v_fma_f64 v[70:71], v[4:5], 2.0, -v[62:63]
	v_add_f64 v[4:5], v[0:1], -v[8:9]
	v_fma_f64 v[68:69], v[10:11], 2.0, -v[60:61]
	v_fma_f64 v[22:23], v[22:23], 2.0, -v[6:7]
	;; [unrolled: 1-line block ×3, first 2 shown]
	v_fma_f64 v[12:13], v[6:7], s[4:5], v[60:61]
	v_add_f64 v[74:75], v[20:21], -v[30:31]
	v_add_f64 v[76:77], v[24:25], -v[36:37]
	v_fma_f64 v[14:15], v[18:19], s[4:5], v[62:63]
	v_fma_f64 v[80:81], v[40:41], 2.0, -v[64:65]
	v_fma_f64 v[78:79], v[38:39], 2.0, -v[48:49]
	v_add_f64 v[10:11], v[26:27], -v[42:43]
	v_add_f64 v[8:9], v[28:29], -v[32:33]
	v_fma_f64 v[30:31], v[50:51], 2.0, -v[46:47]
	v_fma_f64 v[32:33], v[44:45], 2.0, -v[34:35]
	v_fma_f64 v[16:17], v[46:47], s[4:5], v[48:49]
	v_fma_f64 v[36:37], v[34:35], s[4:5], v[64:65]
	v_fma_f64 v[50:51], v[54:55], 2.0, -v[52:53]
	v_fma_f64 v[54:55], v[58:59], 2.0, -v[66:67]
	;; [unrolled: 1-line block ×3, first 2 shown]
	v_add_f64 v[2:3], v[66:67], v[2:3]
	v_fma_f64 v[40:41], v[0:1], 2.0, -v[4:5]
	v_add_f64 v[0:1], v[52:53], -v[4:5]
	v_fma_f64 v[42:43], v[22:23], s[0:1], v[68:69]
	v_fma_f64 v[44:45], v[72:73], s[0:1], v[70:71]
	v_fma_f64 v[4:5], v[18:19], s[0:1], v[12:13]
	v_fma_f64 v[56:57], v[20:21], 2.0, -v[74:75]
	v_fma_f64 v[58:59], v[24:25], 2.0, -v[76:77]
	v_fma_f64 v[6:7], v[6:7], s[4:5], v[14:15]
	v_fma_f64 v[24:25], v[26:27], 2.0, -v[10:11]
	v_fma_f64 v[26:27], v[28:29], 2.0, -v[8:9]
	v_fma_f64 v[28:29], v[30:31], s[0:1], v[78:79]
	v_fma_f64 v[82:83], v[32:33], s[0:1], v[80:81]
	v_add_f64 v[8:9], v[74:75], -v[8:9]
	v_add_f64 v[10:11], v[76:77], v[10:11]
	v_fma_f64 v[12:13], v[34:35], s[0:1], v[16:17]
	v_fma_f64 v[14:15], v[46:47], s[4:5], v[36:37]
	v_add_f64 v[16:17], v[50:51], -v[38:39]
	v_fma_f64 v[34:35], v[66:67], 2.0, -v[2:3]
	v_add_f64 v[18:19], v[54:55], -v[40:41]
	v_fma_f64 v[20:21], v[72:73], s[0:1], v[42:43]
	v_fma_f64 v[22:23], v[22:23], s[4:5], v[44:45]
	v_fma_f64 v[36:37], v[60:61], 2.0, -v[4:5]
	v_fma_f64 v[38:39], v[62:63], 2.0, -v[6:7]
	v_add_f64 v[24:25], v[56:57], -v[24:25]
	v_add_f64 v[26:27], v[58:59], -v[26:27]
	v_fma_f64 v[28:29], v[32:33], s[0:1], v[28:29]
	v_fma_f64 v[30:31], v[30:31], s[4:5], v[82:83]
	v_fma_f64 v[32:33], v[52:53], 2.0, -v[0:1]
	v_fma_f64 v[40:41], v[74:75], 2.0, -v[8:9]
	;; [unrolled: 1-line block ×6, first 2 shown]
	s_add_u32 s1, s8, 0x64f0
	v_fma_f64 v[50:51], v[54:55], 2.0, -v[18:19]
	s_addc_u32 s4, s9, 0
	v_fma_f64 v[52:53], v[68:69], 2.0, -v[20:21]
	v_fma_f64 v[54:55], v[70:71], 2.0, -v[22:23]
	s_mov_b32 s5, exec_lo
	v_fma_f64 v[56:57], v[56:57], 2.0, -v[24:25]
	v_fma_f64 v[58:59], v[58:59], 2.0, -v[26:27]
	;; [unrolled: 1-line block ×4, first 2 shown]
	ds_write_b128 v172, v[0:3] offset:19584
	ds_write_b128 v172, v[4:7] offset:22848
	;; [unrolled: 1-line block ×12, first 2 shown]
	ds_write_b128 v172, v[48:51]
	ds_write_b128 v172, v[52:55] offset:3264
	ds_write_b128 v172, v[56:59] offset:1632
	;; [unrolled: 1-line block ×3, first 2 shown]
	s_waitcnt lgkmcnt(0)
	s_barrier
	buffer_gl0_inv
	ds_read_b128 v[4:7], v172
	v_lshlrev_b32_e32 v0, 4, v100
                                        ; implicit-def: $vgpr8_vgpr9
                                        ; implicit-def: $vgpr10_vgpr11
                                        ; implicit-def: $vgpr12_vgpr13
	v_sub_nc_u32_e32 v14, 0, v0
                                        ; implicit-def: $vgpr0_vgpr1
	v_cmpx_ne_u32_e32 0, v100
	s_xor_b32 s5, exec_lo, s5
	s_cbranch_execz .LBB0_19
; %bb.18:
	v_mov_b32_e32 v101, 0
	v_lshlrev_b64 v[0:1], 4, v[100:101]
	v_add_co_u32 v0, s0, s1, v0
	v_add_co_ci_u32_e64 v1, s0, s4, v1, s0
	global_load_dwordx4 v[15:18], v[0:1], off
	ds_read_b128 v[0:3], v14 offset:26112
	s_waitcnt lgkmcnt(0)
	v_add_f64 v[8:9], v[4:5], -v[0:1]
	v_add_f64 v[10:11], v[6:7], v[2:3]
	v_add_f64 v[2:3], v[6:7], -v[2:3]
	v_add_f64 v[0:1], v[4:5], v[0:1]
	v_mul_f64 v[6:7], v[8:9], 0.5
	v_mul_f64 v[4:5], v[10:11], 0.5
	;; [unrolled: 1-line block ×3, first 2 shown]
	s_waitcnt vmcnt(0)
	v_mul_f64 v[8:9], v[6:7], v[17:18]
	v_fma_f64 v[10:11], v[4:5], v[17:18], v[2:3]
	v_fma_f64 v[2:3], v[4:5], v[17:18], -v[2:3]
	v_fma_f64 v[12:13], v[0:1], 0.5, v[8:9]
	v_fma_f64 v[0:1], v[0:1], 0.5, -v[8:9]
	v_fma_f64 v[10:11], -v[15:16], v[6:7], v[10:11]
	v_fma_f64 v[2:3], -v[15:16], v[6:7], v[2:3]
	v_fma_f64 v[8:9], v[4:5], v[15:16], v[12:13]
	v_mov_b32_e32 v12, v100
	v_fma_f64 v[0:1], -v[4:5], v[15:16], v[0:1]
	v_mov_b32_e32 v13, v101
                                        ; implicit-def: $vgpr4_vgpr5
.LBB0_19:
	s_andn2_saveexec_b32 s0, s5
	s_cbranch_execz .LBB0_21
; %bb.20:
	v_mov_b32_e32 v17, 0
	s_waitcnt lgkmcnt(0)
	v_add_f64 v[8:9], v[4:5], v[6:7]
	v_add_f64 v[0:1], v[4:5], -v[6:7]
	v_mov_b32_e32 v10, 0
	v_mov_b32_e32 v11, 0
	ds_read_b64 v[15:16], v17 offset:13064
	v_mov_b32_e32 v12, 0
	v_mov_b32_e32 v2, v10
	;; [unrolled: 1-line block ×4, first 2 shown]
	s_waitcnt lgkmcnt(0)
	v_xor_b32_e32 v16, 0x80000000, v16
	ds_write_b64 v17, v[15:16] offset:13064
.LBB0_21:
	s_or_b32 exec_lo, exec_lo, s0
	s_waitcnt lgkmcnt(0)
	v_lshlrev_b64 v[4:5], 4, v[12:13]
	v_add_co_u32 v23, s0, s1, v4
	v_add_co_ci_u32_e64 v24, s0, s4, v5, s0
	v_add_co_u32 v6, s0, 0x800, v23
	global_load_dwordx4 v[15:18], v[23:24], off offset:1632
	v_add_co_ci_u32_e64 v7, s0, 0, v24, s0
	global_load_dwordx4 v[19:22], v[6:7], off offset:1216
	ds_write2_b64 v172, v[8:9], v[10:11] offset1:1
	ds_write_b128 v14, v[0:3] offset:26112
	v_add_co_u32 v10, s0, 0x1000, v23
	ds_read_b128 v[0:3], v172 offset:1632
	ds_read_b128 v[6:9], v14 offset:24480
	v_add_co_ci_u32_e64 v11, s0, 0, v24, s0
	global_load_dwordx4 v[10:13], v[10:11], off offset:800
	s_waitcnt lgkmcnt(0)
	v_add_f64 v[25:26], v[0:1], -v[6:7]
	v_add_f64 v[27:28], v[2:3], v[8:9]
	v_add_f64 v[2:3], v[2:3], -v[8:9]
	v_add_f64 v[0:1], v[0:1], v[6:7]
	v_mul_f64 v[8:9], v[25:26], 0.5
	v_mul_f64 v[25:26], v[27:28], 0.5
	;; [unrolled: 1-line block ×3, first 2 shown]
	s_waitcnt vmcnt(2)
	v_mul_f64 v[6:7], v[8:9], v[17:18]
	v_fma_f64 v[27:28], v[25:26], v[17:18], v[2:3]
	v_fma_f64 v[2:3], v[25:26], v[17:18], -v[2:3]
	v_fma_f64 v[17:18], v[0:1], 0.5, v[6:7]
	v_fma_f64 v[0:1], v[0:1], 0.5, -v[6:7]
	v_fma_f64 v[6:7], -v[15:16], v[8:9], v[27:28]
	v_fma_f64 v[2:3], -v[15:16], v[8:9], v[2:3]
	v_fma_f64 v[8:9], v[25:26], v[15:16], v[17:18]
	v_fma_f64 v[0:1], -v[25:26], v[15:16], v[0:1]
	v_add_co_u32 v25, s0, 0x1800, v23
	v_add_co_ci_u32_e64 v26, s0, 0, v24, s0
	ds_write2_b64 v172, v[8:9], v[6:7] offset0:204 offset1:205
	ds_write_b128 v14, v[0:3] offset:24480
	ds_read_b128 v[0:3], v172 offset:3264
	ds_read_b128 v[6:9], v14 offset:22848
	global_load_dwordx4 v[15:18], v[25:26], off offset:384
	s_waitcnt lgkmcnt(0)
	v_add_f64 v[27:28], v[0:1], -v[6:7]
	v_add_f64 v[29:30], v[2:3], v[8:9]
	v_add_f64 v[2:3], v[2:3], -v[8:9]
	v_add_f64 v[0:1], v[0:1], v[6:7]
	v_mul_f64 v[8:9], v[27:28], 0.5
	v_mul_f64 v[27:28], v[29:30], 0.5
	;; [unrolled: 1-line block ×3, first 2 shown]
	s_waitcnt vmcnt(2)
	v_mul_f64 v[6:7], v[8:9], v[21:22]
	v_fma_f64 v[29:30], v[27:28], v[21:22], v[2:3]
	v_fma_f64 v[2:3], v[27:28], v[21:22], -v[2:3]
	v_fma_f64 v[21:22], v[0:1], 0.5, v[6:7]
	v_fma_f64 v[0:1], v[0:1], 0.5, -v[6:7]
	v_fma_f64 v[6:7], -v[19:20], v[8:9], v[29:30]
	v_fma_f64 v[2:3], -v[19:20], v[8:9], v[2:3]
	v_fma_f64 v[8:9], v[27:28], v[19:20], v[21:22]
	v_fma_f64 v[0:1], -v[27:28], v[19:20], v[0:1]
	v_add_nc_u32_e32 v19, 0x800, v172
	ds_write2_b64 v19, v[8:9], v[6:7] offset0:152 offset1:153
	ds_write_b128 v14, v[0:3] offset:22848
	ds_read_b128 v[0:3], v172 offset:4896
	ds_read_b128 v[6:9], v14 offset:21216
	global_load_dwordx4 v[19:22], v[25:26], off offset:2016
	s_waitcnt lgkmcnt(0)
	v_add_f64 v[25:26], v[0:1], -v[6:7]
	v_add_f64 v[27:28], v[2:3], v[8:9]
	v_add_f64 v[2:3], v[2:3], -v[8:9]
	v_add_f64 v[0:1], v[0:1], v[6:7]
	v_mul_f64 v[8:9], v[25:26], 0.5
	v_mul_f64 v[25:26], v[27:28], 0.5
	v_mul_f64 v[2:3], v[2:3], 0.5
	s_waitcnt vmcnt(2)
	v_mul_f64 v[6:7], v[8:9], v[12:13]
	v_fma_f64 v[27:28], v[25:26], v[12:13], v[2:3]
	v_fma_f64 v[2:3], v[25:26], v[12:13], -v[2:3]
	v_fma_f64 v[12:13], v[0:1], 0.5, v[6:7]
	v_fma_f64 v[0:1], v[0:1], 0.5, -v[6:7]
	v_fma_f64 v[6:7], -v[10:11], v[8:9], v[27:28]
	v_fma_f64 v[2:3], -v[10:11], v[8:9], v[2:3]
	v_fma_f64 v[8:9], v[25:26], v[10:11], v[12:13]
	v_fma_f64 v[0:1], -v[25:26], v[10:11], v[0:1]
	v_add_nc_u32_e32 v10, 0x1000, v172
	ds_write2_b64 v10, v[8:9], v[6:7] offset0:100 offset1:101
	ds_write_b128 v14, v[0:3] offset:21216
	v_add_co_u32 v10, s0, 0x2000, v23
	ds_read_b128 v[0:3], v172 offset:6528
	ds_read_b128 v[6:9], v14 offset:19584
	v_add_co_ci_u32_e64 v11, s0, 0, v24, s0
	global_load_dwordx4 v[10:13], v[10:11], off offset:1600
	s_waitcnt lgkmcnt(0)
	v_add_f64 v[25:26], v[0:1], -v[6:7]
	v_add_f64 v[27:28], v[2:3], v[8:9]
	v_add_f64 v[2:3], v[2:3], -v[8:9]
	v_add_f64 v[0:1], v[0:1], v[6:7]
	v_mul_f64 v[8:9], v[25:26], 0.5
	v_mul_f64 v[25:26], v[27:28], 0.5
	;; [unrolled: 1-line block ×3, first 2 shown]
	s_waitcnt vmcnt(2)
	v_mul_f64 v[6:7], v[8:9], v[17:18]
	v_fma_f64 v[27:28], v[25:26], v[17:18], v[2:3]
	v_fma_f64 v[2:3], v[25:26], v[17:18], -v[2:3]
	v_fma_f64 v[17:18], v[0:1], 0.5, v[6:7]
	v_fma_f64 v[0:1], v[0:1], 0.5, -v[6:7]
	v_fma_f64 v[6:7], -v[15:16], v[8:9], v[27:28]
	v_fma_f64 v[2:3], -v[15:16], v[8:9], v[2:3]
	v_add_nc_u32_e32 v27, 0x1800, v172
	v_fma_f64 v[8:9], v[25:26], v[15:16], v[17:18]
	v_fma_f64 v[0:1], -v[25:26], v[15:16], v[0:1]
	v_add_co_u32 v15, s0, 0x2800, v23
	v_add_co_ci_u32_e64 v16, s0, 0, v24, s0
	ds_write2_b64 v27, v[8:9], v[6:7] offset0:48 offset1:49
	ds_write_b128 v14, v[0:3] offset:19584
	ds_read_b128 v[0:3], v172 offset:8160
	ds_read_b128 v[6:9], v14 offset:17952
	global_load_dwordx4 v[15:18], v[15:16], off offset:1184
	s_waitcnt lgkmcnt(0)
	v_add_f64 v[23:24], v[0:1], -v[6:7]
	v_add_f64 v[25:26], v[2:3], v[8:9]
	v_add_f64 v[2:3], v[2:3], -v[8:9]
	v_add_f64 v[0:1], v[0:1], v[6:7]
	v_mul_f64 v[8:9], v[23:24], 0.5
	v_mul_f64 v[23:24], v[25:26], 0.5
	;; [unrolled: 1-line block ×3, first 2 shown]
	s_waitcnt vmcnt(2)
	v_mul_f64 v[6:7], v[8:9], v[21:22]
	v_fma_f64 v[25:26], v[23:24], v[21:22], v[2:3]
	v_fma_f64 v[2:3], v[23:24], v[21:22], -v[2:3]
	v_fma_f64 v[21:22], v[0:1], 0.5, v[6:7]
	v_fma_f64 v[0:1], v[0:1], 0.5, -v[6:7]
	v_fma_f64 v[6:7], -v[19:20], v[8:9], v[25:26]
	v_fma_f64 v[2:3], -v[19:20], v[8:9], v[2:3]
	v_fma_f64 v[8:9], v[23:24], v[19:20], v[21:22]
	v_fma_f64 v[0:1], -v[23:24], v[19:20], v[0:1]
	ds_write2_b64 v27, v[8:9], v[6:7] offset0:252 offset1:253
	ds_write_b128 v14, v[0:3] offset:17952
	ds_read_b128 v[0:3], v172 offset:9792
	ds_read_b128 v[6:9], v14 offset:16320
	s_waitcnt lgkmcnt(0)
	v_add_f64 v[19:20], v[0:1], -v[6:7]
	v_add_f64 v[21:22], v[2:3], v[8:9]
	v_add_f64 v[2:3], v[2:3], -v[8:9]
	v_add_f64 v[0:1], v[0:1], v[6:7]
	v_mul_f64 v[8:9], v[19:20], 0.5
	v_mul_f64 v[19:20], v[21:22], 0.5
	;; [unrolled: 1-line block ×3, first 2 shown]
	s_waitcnt vmcnt(1)
	v_mul_f64 v[6:7], v[8:9], v[12:13]
	v_fma_f64 v[21:22], v[19:20], v[12:13], v[2:3]
	v_fma_f64 v[2:3], v[19:20], v[12:13], -v[2:3]
	v_fma_f64 v[12:13], v[0:1], 0.5, v[6:7]
	v_fma_f64 v[0:1], v[0:1], 0.5, -v[6:7]
	v_fma_f64 v[6:7], -v[10:11], v[8:9], v[21:22]
	v_fma_f64 v[2:3], -v[10:11], v[8:9], v[2:3]
	v_fma_f64 v[8:9], v[19:20], v[10:11], v[12:13]
	v_fma_f64 v[0:1], -v[19:20], v[10:11], v[0:1]
	v_add_nc_u32_e32 v10, 0x2000, v172
	ds_write2_b64 v10, v[8:9], v[6:7] offset0:200 offset1:201
	ds_write_b128 v14, v[0:3] offset:16320
	ds_read_b128 v[0:3], v172 offset:11424
	ds_read_b128 v[6:9], v14 offset:14688
	s_waitcnt lgkmcnt(0)
	v_add_f64 v[10:11], v[0:1], -v[6:7]
	v_add_f64 v[12:13], v[2:3], v[8:9]
	v_add_f64 v[2:3], v[2:3], -v[8:9]
	v_add_f64 v[0:1], v[0:1], v[6:7]
	v_mul_f64 v[8:9], v[10:11], 0.5
	v_mul_f64 v[10:11], v[12:13], 0.5
	;; [unrolled: 1-line block ×3, first 2 shown]
	s_waitcnt vmcnt(0)
	v_mul_f64 v[6:7], v[8:9], v[17:18]
	v_fma_f64 v[12:13], v[10:11], v[17:18], v[2:3]
	v_fma_f64 v[2:3], v[10:11], v[17:18], -v[2:3]
	v_fma_f64 v[17:18], v[0:1], 0.5, v[6:7]
	v_fma_f64 v[0:1], v[0:1], 0.5, -v[6:7]
	v_fma_f64 v[6:7], -v[15:16], v[8:9], v[12:13]
	v_fma_f64 v[2:3], -v[15:16], v[8:9], v[2:3]
	v_fma_f64 v[8:9], v[10:11], v[15:16], v[17:18]
	v_fma_f64 v[0:1], -v[10:11], v[15:16], v[0:1]
	v_add_nc_u32_e32 v10, 0x2800, v172
	ds_write2_b64 v10, v[8:9], v[6:7] offset0:148 offset1:149
	ds_write_b128 v14, v[0:3] offset:14688
	s_waitcnt lgkmcnt(0)
	s_barrier
	buffer_gl0_inv
	s_and_saveexec_b32 s0, vcc_lo
	s_cbranch_execz .LBB0_24
; %bb.22:
	v_add_co_u32 v0, vcc_lo, s2, v102
	v_add_co_ci_u32_e32 v1, vcc_lo, s3, v103, vcc_lo
	ds_read_b128 v[6:9], v172
	ds_read_b128 v[10:13], v172 offset:1632
	ds_read_b128 v[14:17], v172 offset:3264
	ds_read_b128 v[18:21], v172 offset:4896
	ds_read_b128 v[22:25], v172 offset:6528
	v_add_co_u32 v26, vcc_lo, v0, v4
	v_add_co_ci_u32_e32 v27, vcc_lo, v1, v5, vcc_lo
	v_add_co_u32 v2, vcc_lo, 0x800, v26
	v_add_co_ci_u32_e32 v3, vcc_lo, 0, v27, vcc_lo
	;; [unrolled: 2-line block ×4, first 2 shown]
	v_add_co_u32 v30, vcc_lo, 0x2000, v26
	s_waitcnt lgkmcnt(4)
	global_store_dwordx4 v[26:27], v[6:9], off
	s_waitcnt lgkmcnt(3)
	global_store_dwordx4 v[26:27], v[10:13], off offset:1632
	s_waitcnt lgkmcnt(2)
	global_store_dwordx4 v[2:3], v[14:17], off offset:1216
	;; [unrolled: 2-line block ×4, first 2 shown]
	ds_read_b128 v[2:5], v172 offset:8160
	ds_read_b128 v[6:9], v172 offset:9792
	;; [unrolled: 1-line block ×6, first 2 shown]
	v_add_co_ci_u32_e32 v31, vcc_lo, 0, v27, vcc_lo
	v_add_co_u32 v32, vcc_lo, 0x2800, v26
	v_add_co_ci_u32_e32 v33, vcc_lo, 0, v27, vcc_lo
	v_add_co_u32 v34, vcc_lo, 0x3000, v26
	;; [unrolled: 2-line block ×3, first 2 shown]
	v_add_co_ci_u32_e32 v37, vcc_lo, 0, v27, vcc_lo
	s_waitcnt lgkmcnt(5)
	global_store_dwordx4 v[28:29], v[2:5], off offset:2016
	s_waitcnt lgkmcnt(4)
	global_store_dwordx4 v[30:31], v[6:9], off offset:1600
	s_waitcnt lgkmcnt(3)
	global_store_dwordx4 v[32:33], v[10:13], off offset:1184
	s_waitcnt lgkmcnt(2)
	global_store_dwordx4 v[34:35], v[14:17], off offset:768
	s_waitcnt lgkmcnt(1)
	global_store_dwordx4 v[36:37], v[18:21], off offset:352
	s_waitcnt lgkmcnt(0)
	global_store_dwordx4 v[36:37], v[22:25], off offset:1984
	ds_read_b128 v[2:5], v172 offset:17952
	ds_read_b128 v[6:9], v172 offset:19584
	;; [unrolled: 1-line block ×5, first 2 shown]
	v_add_co_u32 v22, vcc_lo, 0x4000, v26
	v_add_co_ci_u32_e32 v23, vcc_lo, 0, v27, vcc_lo
	v_add_co_u32 v24, vcc_lo, 0x4800, v26
	v_add_co_ci_u32_e32 v25, vcc_lo, 0, v27, vcc_lo
	;; [unrolled: 2-line block ×4, first 2 shown]
	v_cmp_eq_u32_e32 vcc_lo, 0x65, v100
	s_waitcnt lgkmcnt(4)
	global_store_dwordx4 v[22:23], v[2:5], off offset:1568
	s_waitcnt lgkmcnt(3)
	global_store_dwordx4 v[24:25], v[6:9], off offset:1152
	;; [unrolled: 2-line block ×5, first 2 shown]
	s_and_b32 exec_lo, exec_lo, vcc_lo
	s_cbranch_execz .LBB0_24
; %bb.23:
	v_mov_b32_e32 v2, 0
	v_add_co_u32 v0, vcc_lo, 0x6000, v0
	v_add_co_ci_u32_e32 v1, vcc_lo, 0, v1, vcc_lo
	ds_read_b128 v[2:5], v2 offset:26112
	s_waitcnt lgkmcnt(0)
	global_store_dwordx4 v[0:1], v[2:5], off offset:1536
.LBB0_24:
	s_endpgm
	.section	.rodata,"a",@progbits
	.p2align	6, 0x0
	.amdhsa_kernel fft_rtc_fwd_len1632_factors_17_2_2_3_8_wgs_102_tpt_102_halfLds_dp_ip_CI_unitstride_sbrr_R2C_dirReg
		.amdhsa_group_segment_fixed_size 0
		.amdhsa_private_segment_fixed_size 0
		.amdhsa_kernarg_size 88
		.amdhsa_user_sgpr_count 6
		.amdhsa_user_sgpr_private_segment_buffer 1
		.amdhsa_user_sgpr_dispatch_ptr 0
		.amdhsa_user_sgpr_queue_ptr 0
		.amdhsa_user_sgpr_kernarg_segment_ptr 1
		.amdhsa_user_sgpr_dispatch_id 0
		.amdhsa_user_sgpr_flat_scratch_init 0
		.amdhsa_user_sgpr_private_segment_size 0
		.amdhsa_wavefront_size32 1
		.amdhsa_uses_dynamic_stack 0
		.amdhsa_system_sgpr_private_segment_wavefront_offset 0
		.amdhsa_system_sgpr_workgroup_id_x 1
		.amdhsa_system_sgpr_workgroup_id_y 0
		.amdhsa_system_sgpr_workgroup_id_z 0
		.amdhsa_system_sgpr_workgroup_info 0
		.amdhsa_system_vgpr_workitem_id 0
		.amdhsa_next_free_vgpr 229
		.amdhsa_next_free_sgpr 54
		.amdhsa_reserve_vcc 1
		.amdhsa_reserve_flat_scratch 0
		.amdhsa_float_round_mode_32 0
		.amdhsa_float_round_mode_16_64 0
		.amdhsa_float_denorm_mode_32 3
		.amdhsa_float_denorm_mode_16_64 3
		.amdhsa_dx10_clamp 1
		.amdhsa_ieee_mode 1
		.amdhsa_fp16_overflow 0
		.amdhsa_workgroup_processor_mode 1
		.amdhsa_memory_ordered 1
		.amdhsa_forward_progress 0
		.amdhsa_shared_vgpr_count 0
		.amdhsa_exception_fp_ieee_invalid_op 0
		.amdhsa_exception_fp_denorm_src 0
		.amdhsa_exception_fp_ieee_div_zero 0
		.amdhsa_exception_fp_ieee_overflow 0
		.amdhsa_exception_fp_ieee_underflow 0
		.amdhsa_exception_fp_ieee_inexact 0
		.amdhsa_exception_int_div_zero 0
	.end_amdhsa_kernel
	.text
.Lfunc_end0:
	.size	fft_rtc_fwd_len1632_factors_17_2_2_3_8_wgs_102_tpt_102_halfLds_dp_ip_CI_unitstride_sbrr_R2C_dirReg, .Lfunc_end0-fft_rtc_fwd_len1632_factors_17_2_2_3_8_wgs_102_tpt_102_halfLds_dp_ip_CI_unitstride_sbrr_R2C_dirReg
                                        ; -- End function
	.section	.AMDGPU.csdata,"",@progbits
; Kernel info:
; codeLenInByte = 17100
; NumSgprs: 56
; NumVgprs: 229
; ScratchSize: 0
; MemoryBound: 0
; FloatMode: 240
; IeeeMode: 1
; LDSByteSize: 0 bytes/workgroup (compile time only)
; SGPRBlocks: 6
; VGPRBlocks: 28
; NumSGPRsForWavesPerEU: 56
; NumVGPRsForWavesPerEU: 229
; Occupancy: 4
; WaveLimiterHint : 1
; COMPUTE_PGM_RSRC2:SCRATCH_EN: 0
; COMPUTE_PGM_RSRC2:USER_SGPR: 6
; COMPUTE_PGM_RSRC2:TRAP_HANDLER: 0
; COMPUTE_PGM_RSRC2:TGID_X_EN: 1
; COMPUTE_PGM_RSRC2:TGID_Y_EN: 0
; COMPUTE_PGM_RSRC2:TGID_Z_EN: 0
; COMPUTE_PGM_RSRC2:TIDIG_COMP_CNT: 0
	.text
	.p2alignl 6, 3214868480
	.fill 48, 4, 3214868480
	.type	__hip_cuid_74c5a9d78102aeb6,@object ; @__hip_cuid_74c5a9d78102aeb6
	.section	.bss,"aw",@nobits
	.globl	__hip_cuid_74c5a9d78102aeb6
__hip_cuid_74c5a9d78102aeb6:
	.byte	0                               ; 0x0
	.size	__hip_cuid_74c5a9d78102aeb6, 1

	.ident	"AMD clang version 19.0.0git (https://github.com/RadeonOpenCompute/llvm-project roc-6.4.0 25133 c7fe45cf4b819c5991fe208aaa96edf142730f1d)"
	.section	".note.GNU-stack","",@progbits
	.addrsig
	.addrsig_sym __hip_cuid_74c5a9d78102aeb6
	.amdgpu_metadata
---
amdhsa.kernels:
  - .args:
      - .actual_access:  read_only
        .address_space:  global
        .offset:         0
        .size:           8
        .value_kind:     global_buffer
      - .offset:         8
        .size:           8
        .value_kind:     by_value
      - .actual_access:  read_only
        .address_space:  global
        .offset:         16
        .size:           8
        .value_kind:     global_buffer
      - .actual_access:  read_only
        .address_space:  global
        .offset:         24
        .size:           8
        .value_kind:     global_buffer
      - .offset:         32
        .size:           8
        .value_kind:     by_value
      - .actual_access:  read_only
        .address_space:  global
        .offset:         40
        .size:           8
        .value_kind:     global_buffer
      - .actual_access:  read_only
        .address_space:  global
        .offset:         48
        .size:           8
        .value_kind:     global_buffer
      - .offset:         56
        .size:           4
        .value_kind:     by_value
      - .actual_access:  read_only
        .address_space:  global
        .offset:         64
        .size:           8
        .value_kind:     global_buffer
      - .actual_access:  read_only
        .address_space:  global
        .offset:         72
        .size:           8
        .value_kind:     global_buffer
      - .address_space:  global
        .offset:         80
        .size:           8
        .value_kind:     global_buffer
    .group_segment_fixed_size: 0
    .kernarg_segment_align: 8
    .kernarg_segment_size: 88
    .language:       OpenCL C
    .language_version:
      - 2
      - 0
    .max_flat_workgroup_size: 102
    .name:           fft_rtc_fwd_len1632_factors_17_2_2_3_8_wgs_102_tpt_102_halfLds_dp_ip_CI_unitstride_sbrr_R2C_dirReg
    .private_segment_fixed_size: 0
    .sgpr_count:     56
    .sgpr_spill_count: 0
    .symbol:         fft_rtc_fwd_len1632_factors_17_2_2_3_8_wgs_102_tpt_102_halfLds_dp_ip_CI_unitstride_sbrr_R2C_dirReg.kd
    .uniform_work_group_size: 1
    .uses_dynamic_stack: false
    .vgpr_count:     229
    .vgpr_spill_count: 0
    .wavefront_size: 32
    .workgroup_processor_mode: 1
amdhsa.target:   amdgcn-amd-amdhsa--gfx1030
amdhsa.version:
  - 1
  - 2
...

	.end_amdgpu_metadata
